;; amdgpu-corpus repo=zjin-lcf/HeCBench kind=compiled arch=gfx1250 opt=O3
	.amdgcn_target "amdgcn-amd-amdhsa--gfx1250"
	.amdhsa_code_object_version 6
	.text
	.protected	_Z30ker_zmddft_fwd_256x256x256_cu0PKdPd ; -- Begin function _Z30ker_zmddft_fwd_256x256x256_cu0PKdPd
	.globl	_Z30ker_zmddft_fwd_256x256x256_cu0PKdPd
	.p2align	8
	.type	_Z30ker_zmddft_fwd_256x256x256_cu0PKdPd,@function
_Z30ker_zmddft_fwd_256x256x256_cu0PKdPd: ; @_Z30ker_zmddft_fwd_256x256x256_cu0PKdPd
; %bb.0:
	s_bfe_u32 s2, ttmp6, 0x4000c
	v_dual_lshlrev_b32 v1, 5, v0 :: v_dual_bitop2_b32 v94, 15, v0 bitop3:0x40
	s_add_co_i32 s2, s2, 1
	s_and_b32 s4, ttmp6, 15
	s_mul_i32 s6, ttmp9, s2
	s_getreg_b32 s5, hwreg(HW_REG_IB_STS2, 6, 4)
	s_load_b128 s[0:3], s[0:1], 0x0
	s_add_co_i32 s4, s4, s6
	v_and_b32_e32 v1, 0x7e00, v1
	s_cmp_eq_u32 s5, 0
	s_mov_b64 s[6:7], 0x3fe6a09e667f3bcd
	s_cselect_b32 s10, ttmp9, s4
	s_mov_b64 s[4:5], 0x3fd87de2a6aea963
	v_lshl_add_u32 v1, s10, 11, v1
	s_get_pc_i64 s[8:9]
	s_add_nc_u64 s[8:9], s[8:9], _ZL2D3@rel64+68
	s_get_pc_i64 s[12:13]
	s_add_nc_u64 s[12:13], s[12:13], _ZL2D3@rel64+196
	v_lshrrev_b32_e32 v95, 4, v0
	v_lshl_or_b32 v2, v94, 1, v1
	v_lshlrev_b32_e32 v1, 8, v94
	s_delay_alu instid0(VALU_DEP_2) | instskip(SKIP_1) | instid1(VALU_DEP_1)
	v_ashrrev_i32_e32 v3, 31, v2
	s_wait_kmcnt 0x0
	v_lshl_add_u64 v[38:39], v[2:3], 3, s[0:1]
	s_clause 0xf
	global_load_b128 v[18:21], v[38:39], off offset:256
	global_load_b128 v[42:45], v[38:39], off offset:2304
	;; [unrolled: 1-line block ×12, first 2 shown]
	global_load_b128 v[26:29], v[38:39], off
	global_load_b128 v[34:37], v[38:39], off offset:2048
	global_load_b128 v[30:33], v[38:39], off offset:1024
	;; [unrolled: 1-line block ×3, first 2 shown]
	s_mov_b64 s[0:1], 0x3fed906bcf328d46
	s_wait_loadcnt 0xe
	v_add_f64_e64 v[70:71], v[18:19], -v[42:43]
	v_add_f64_e32 v[64:65], v[18:19], v[42:43]
	s_wait_loadcnt 0xc
	v_add_f64_e64 v[74:75], v[24:25], -v[48:49]
	v_add_f64_e32 v[66:67], v[22:23], v[46:47]
	v_add_f64_e64 v[72:73], v[20:21], -v[44:45]
	s_wait_loadcnt 0x9
	v_add_f64_e64 v[68:69], v[2:3], -v[6:7]
	s_wait_loadcnt 0x8
	v_add_f64_e64 v[80:81], v[50:51], -v[54:55]
	v_add_f64_e32 v[62:63], v[52:53], v[56:57]
	s_wait_loadcnt 0x6
	v_add_f64_e64 v[76:77], v[16:17], -v[12:13]
	v_add_f64_e64 v[82:83], v[52:53], -v[56:57]
	s_wait_loadcnt 0x4
	v_add_f64_e64 v[86:87], v[60:61], -v[98:99]
	v_add_f64_e32 v[60:61], v[60:61], v[98:99]
	v_add_f64_e64 v[84:85], v[58:59], -v[96:97]
	v_add_f64_e64 v[78:79], v[22:23], -v[46:47]
	;; [unrolled: 1-line block ×4, first 2 shown]
	v_add_f64_e32 v[20:21], v[20:21], v[44:45]
	v_add_f64_e32 v[48:49], v[24:25], v[48:49]
	;; [unrolled: 1-line block ×5, first 2 shown]
	s_wait_loadcnt 0x2
	v_add_f64_e32 v[18:19], v[26:27], v[34:35]
	v_add_f64_e32 v[42:43], v[28:29], v[36:37]
	s_wait_loadcnt 0x0
	v_add_f64_e32 v[52:53], v[30:31], v[38:39]
	v_add_f64_e32 v[56:57], v[32:33], v[40:41]
	v_add_f64_e32 v[4:5], v[4:5], v[8:9]
	v_add_f64_e32 v[8:9], v[14:15], v[10:11]
	v_add_f64_e32 v[10:11], v[16:17], v[12:13]
	v_add_f64_e64 v[12:13], v[26:27], -v[34:35]
	v_add_f64_e64 v[14:15], v[28:29], -v[36:37]
	;; [unrolled: 1-line block ×4, first 2 shown]
	v_add_f64_e32 v[88:89], v[70:71], v[74:75]
	v_add_f64_e64 v[50:51], v[64:65], -v[66:67]
	v_add_f64_e64 v[58:59], v[70:71], -v[74:75]
	v_add_f64_e32 v[64:65], v[64:65], v[66:67]
	v_add_f64_e32 v[90:91], v[68:69], v[76:77]
	v_add_f64_e64 v[68:69], v[68:69], -v[76:77]
	v_add_f64_e32 v[92:93], v[80:81], v[86:87]
	v_add_f64_e64 v[54:55], v[62:63], -v[60:61]
	v_add_f64_e64 v[6:7], v[80:81], -v[86:87]
	v_add_f64_e32 v[70:71], v[82:83], v[84:85]
	v_add_f64_e64 v[32:33], v[72:73], -v[78:79]
	v_add_f64_e64 v[34:35], v[22:23], -v[46:47]
	;; [unrolled: 1-line block ×4, first 2 shown]
	v_add_f64_e32 v[72:73], v[72:73], v[78:79]
	v_add_f64_e64 v[84:85], v[24:25], -v[44:45]
	v_add_f64_e32 v[22:23], v[22:23], v[46:47]
	v_add_f64_e32 v[20:21], v[20:21], v[48:49]
	;; [unrolled: 1-line block ×8, first 2 shown]
	v_add_f64_e64 v[4:5], v[4:5], -v[10:11]
	v_add_f64_e64 v[2:3], v[2:3], -v[8:9]
	;; [unrolled: 1-line block ×3, first 2 shown]
	v_add_f64_e32 v[60:61], v[12:13], v[26:27]
	v_add_f64_e64 v[18:19], v[18:19], -v[52:53]
	v_add_f64_e64 v[42:43], v[42:43], -v[56:57]
	v_mul_f64_e32 v[38:39], 0x3fed906bcf328d46, v[88:89]
	v_mul_f64_e32 v[40:41], 0x3fd87de2a6aea963, v[88:89]
	;; [unrolled: 1-line block ×5, first 2 shown]
	v_add_f64_e64 v[12:13], v[12:13], -v[26:27]
	v_mul_f64_e32 v[74:75], 0x3fe6a09e667f3bcd, v[90:91]
	v_mul_f64_e32 v[68:69], 0x3fe6a09e667f3bcd, v[68:69]
	;; [unrolled: 1-line block ×7, first 2 shown]
	v_add_f64_e32 v[14:15], v[14:15], v[16:17]
	v_add_f64_e32 v[62:63], v[20:21], v[44:45]
	v_add_f64_e64 v[20:21], v[20:21], -v[44:45]
	v_add_f64_e32 v[56:57], v[30:31], v[86:87]
	v_add_f64_e64 v[44:45], v[64:65], -v[24:25]
	v_fmac_f64_e32 v[38:39], 0x3fd87de2a6aea963, v[32:33]
	v_fma_f64 v[10:11], v[32:33], s[0:1], -v[40:41]
	v_fma_f64 v[16:17], v[82:83], s[6:7], -v[50:51]
	v_fmac_f64_e32 v[46:47], 0x3fed906bcf328d46, v[72:73]
	v_fma_f64 v[40:41], v[72:73], s[4:5], -v[58:59]
	v_add_f64_e32 v[58:59], v[64:65], v[24:25]
	v_fma_f64 v[32:33], v[34:35], s[6:7], -v[74:75]
	v_fma_f64 v[52:53], v[22:23], s[6:7], -v[68:69]
	v_fmac_f64_e32 v[76:77], 0x3fed906bcf328d46, v[36:37]
	v_fma_f64 v[36:37], v[36:37], s[4:5], -v[80:81]
	v_fmamk_f64 v[26:27], v[84:85], 0xbfe6a09e667f3bcd, v[54:55]
	v_fmac_f64_e32 v[54:55], 0x3fe6a09e667f3bcd, v[84:85]
	v_fmac_f64_e32 v[68:69], 0x3fe6a09e667f3bcd, v[22:23]
	;; [unrolled: 1-line block ×3, first 2 shown]
	v_fma_f64 v[6:7], v[6:7], s[4:5], -v[78:79]
	v_fmamk_f64 v[34:35], v[34:35], 0x3fe6a09e667f3bcd, v[74:75]
	v_add_f64_e32 v[22:23], v[28:29], v[48:49]
	v_add_f64_e64 v[48:49], v[28:29], -v[48:49]
	v_fmamk_f64 v[28:29], v[82:83], 0x3fe6a09e667f3bcd, v[50:51]
	v_add_f64_e64 v[50:51], v[30:31], -v[86:87]
	v_add_f64_e32 v[64:65], v[18:19], v[4:5]
	v_add_f64_e32 v[70:71], v[42:43], v[2:3]
	;; [unrolled: 1-line block ×3, first 2 shown]
	v_add_f64_e64 v[34:35], v[60:61], -v[34:35]
	v_add_f64_e64 v[2:3], v[42:43], -v[2:3]
	v_add_f64_e32 v[72:73], v[28:29], v[26:27]
	v_add_f64_e64 v[86:87], v[18:19], -v[4:5]
	v_add_f64_e64 v[78:79], v[28:29], -v[26:27]
	;; [unrolled: 1-line block ×3, first 2 shown]
	v_add_f64_e32 v[80:81], v[8:9], v[32:33]
	v_add_f64_e64 v[60:61], v[8:9], -v[32:33]
	v_add_f64_e32 v[82:83], v[38:39], v[76:77]
	v_add_f64_e32 v[84:85], v[10:11], v[36:37]
	v_add_f64_e64 v[36:37], v[10:11], -v[36:37]
	v_add_f64_e64 v[76:77], v[38:39], -v[76:77]
	;; [unrolled: 1-line block ×3, first 2 shown]
	v_add_f64_e32 v[54:55], v[16:17], v[54:55]
	v_add_f64_e32 v[90:91], v[12:13], v[52:53]
	v_add_f64_e64 v[92:93], v[14:15], -v[68:69]
	v_add_f64_e64 v[96:97], v[46:47], -v[66:67]
	v_add_f64_e32 v[98:99], v[40:41], v[6:7]
	v_add_f64_e64 v[100:101], v[12:13], -v[52:53]
	v_add_f64_e32 v[68:69], v[14:15], v[68:69]
	;; [unrolled: 2-line block ×3, first 2 shown]
	v_add_f64_e32 v[30:31], v[22:23], v[58:59]
	v_add_f64_e32 v[32:33], v[56:57], v[62:63]
	v_add_f64_e64 v[26:27], v[22:23], -v[58:59]
	v_add_f64_e32 v[22:23], v[48:49], v[20:21]
	v_add_f64_e64 v[18:19], v[48:49], -v[20:21]
	v_add_f64_e64 v[24:25], v[50:51], -v[44:45]
	v_add_f64_e32 v[20:21], v[50:51], v[44:45]
	v_add_f64_e32 v[14:15], v[64:65], v[72:73]
	v_add_f64_e64 v[10:11], v[64:65], -v[72:73]
	v_add_f64_e64 v[8:9], v[70:71], -v[78:79]
	v_add_f64_e32 v[4:5], v[70:71], v[78:79]
	v_add_f64_e32 v[46:47], v[74:75], v[82:83]
	;; [unrolled: 1-line block ×3, first 2 shown]
	v_add_f64_e64 v[42:43], v[74:75], -v[82:83]
	v_add_f64_e64 v[44:45], v[80:81], -v[84:85]
	v_add_f64_e32 v[38:39], v[34:35], v[36:37]
	v_add_f64_e64 v[40:41], v[60:61], -v[76:77]
	v_add_f64_e64 v[34:35], v[34:35], -v[36:37]
	v_add_f64_e32 v[36:37], v[60:61], v[76:77]
	v_add_f64_e32 v[16:17], v[2:3], v[88:89]
	v_add_f64_e64 v[12:13], v[2:3], -v[88:89]
	v_add_f64_e32 v[6:7], v[86:87], v[54:55]
	v_add_f64_e64 v[2:3], v[86:87], -v[54:55]
	v_add_f64_e32 v[54:55], v[90:91], v[96:97]
	v_add_f64_e32 v[56:57], v[92:93], v[98:99]
	v_add_f64_e64 v[50:51], v[90:91], -v[96:97]
	v_add_f64_e64 v[52:53], v[92:93], -v[98:99]
	v_add_f64_e32 v[58:59], v[100:101], v[102:103]
	v_add_f64_e64 v[60:61], v[68:69], -v[66:67]
	v_add_f64_e64 v[62:63], v[100:101], -v[102:103]
	v_dual_add_f64 v[64:65], v[68:69], v[66:67] :: v_dual_lshlrev_b32 v66, 8, v0
	v_dual_lshlrev_b32 v0, 4, v94 :: v_dual_lshlrev_b32 v94, 17, v94
	ds_store_b128 v66, v[30:33]
	ds_store_b128 v66, v[46:49] offset:16
	ds_store_b128 v66, v[26:29] offset:128
	;; [unrolled: 1-line block ×15, first 2 shown]
	s_wait_dscnt 0x0
	s_barrier_signal -1
	s_barrier_wait -1
	s_clause 0x3
	global_load_b128 v[22:25], v1, s[8:9]
	global_load_b128 v[26:29], v1, s[8:9] offset:16
	global_load_b128 v[34:37], v1, s[8:9] offset:32
	;; [unrolled: 1-line block ×3, first 2 shown]
	s_wait_xcnt 0x0
	s_get_pc_i64 s[8:9]
	s_add_nc_u64 s[8:9], s[8:9], _ZL2D3@rel64+132
	s_clause 0x7
	global_load_b128 v[42:45], v1, s[8:9]
	global_load_b128 v[38:41], v1, s[8:9] offset:16
	global_load_b128 v[66:69], v1, s[12:13]
	global_load_b128 v[62:65], v1, s[12:13] offset:16
	global_load_b128 v[58:61], v1, s[12:13] offset:32
	;; [unrolled: 1-line block ×5, first 2 shown]
	s_wait_xcnt 0x0
	s_get_pc_i64 s[8:9]
	s_add_nc_u64 s[8:9], s[8:9], _ZL2D3@rel64+4
	s_clause 0x3
	global_load_b128 v[14:17], v1, s[8:9]
	global_load_b128 v[10:13], v1, s[8:9] offset:16
	global_load_b128 v[6:9], v1, s[8:9] offset:32
	global_load_b128 v[2:5], v1, s[8:9] offset:48
	v_lshl_or_b32 v110, v95, 12, v0
	ds_load_b128 v[74:77], v110 offset:256
	ds_load_b128 v[78:81], v110 offset:2304
	;; [unrolled: 1-line block ×7, first 2 shown]
	v_lshlrev_b32_e32 v95, 1, v95
	s_wait_xcnt 0x0
	s_lshl_b32 s8, s10, 3
	s_wait_loadcnt_dscnt 0xf06
	v_mul_f64_e32 v[72:73], v[76:77], v[24:25]
	v_mul_f64_e32 v[0:1], v[74:75], v[24:25]
	s_wait_loadcnt_dscnt 0xe05
	v_mul_f64_e32 v[100:101], v[80:81], v[28:29]
	s_wait_loadcnt_dscnt 0xd04
	v_mul_f64_e32 v[102:103], v[84:85], v[36:37]
	v_mul_f64_e32 v[36:37], v[82:83], v[36:37]
	;; [unrolled: 1-line block ×3, first 2 shown]
	s_wait_loadcnt_dscnt 0xc03
	v_mul_f64_e32 v[104:105], v[88:89], v[32:33]
	s_wait_loadcnt_dscnt 0xb01
	v_mul_f64_e32 v[106:107], v[92:93], v[44:45]
	v_mul_f64_e32 v[44:45], v[90:91], v[44:45]
	v_fma_f64 v[74:75], v[74:75], v[22:23], -v[72:73]
	v_mul_f64_e32 v[72:73], v[86:87], v[32:33]
	v_fmac_f64_e32 v[0:1], v[76:77], v[22:23]
	v_fma_f64 v[76:77], v[78:79], v[26:27], -v[100:101]
	v_fma_f64 v[78:79], v[82:83], v[34:35], -v[102:103]
	v_fmac_f64_e32 v[36:37], v[84:85], v[34:35]
	s_wait_loadcnt_dscnt 0xa00
	v_mul_f64_e32 v[82:83], v[98:99], v[40:41]
	v_mul_f64_e32 v[34:35], v[96:97], v[40:41]
	v_fmac_f64_e32 v[70:71], v[80:81], v[26:27]
	ds_load_b128 v[26:29], v110 offset:768
	ds_load_b128 v[100:103], v110 offset:2816
	v_fma_f64 v[80:81], v[86:87], v[30:31], -v[104:105]
	v_fma_f64 v[40:41], v[90:91], v[42:43], -v[106:107]
	v_fmac_f64_e32 v[44:45], v[92:93], v[42:43]
	ds_load_b128 v[90:93], v110 offset:1536
	ds_load_b128 v[22:25], v110 offset:3072
	v_fmac_f64_e32 v[72:73], v[88:89], v[30:31]
	ds_load_b128 v[30:33], v110 offset:1792
	s_wait_loadcnt_dscnt 0x904
	v_mul_f64_e32 v[84:85], v[28:29], v[68:69]
	v_mul_f64_e32 v[68:69], v[26:27], v[68:69]
	ds_load_b128 v[86:89], v110 offset:3840
	v_fma_f64 v[42:43], v[96:97], v[38:39], -v[82:83]
	v_fmac_f64_e32 v[34:35], v[98:99], v[38:39]
	ds_load_b128 v[96:99], v110 offset:3584
	s_wait_loadcnt_dscnt 0x805
	v_mul_f64_e32 v[104:105], v[102:103], v[64:65]
	v_mul_f64_e32 v[64:65], v[100:101], v[64:65]
	s_wait_loadcnt_dscnt 0x702
	v_mul_f64_e32 v[106:107], v[32:33], v[60:61]
	v_mul_f64_e32 v[82:83], v[30:31], v[60:61]
	s_wait_loadcnt_dscnt 0x601
	v_mul_f64_e32 v[108:109], v[88:89], v[56:57]
	v_fma_f64 v[38:39], v[26:27], v[66:67], -v[84:85]
	v_fmac_f64_e32 v[68:69], v[28:29], v[66:67]
	v_mul_f64_e32 v[66:67], v[86:87], v[56:57]
	ds_load_b128 v[26:29], v110
	s_wait_loadcnt 0x5
	v_mul_f64_e32 v[60:61], v[90:91], v[52:53]
	v_fma_f64 v[56:57], v[100:101], v[62:63], -v[104:105]
	v_mul_f64_e32 v[100:101], v[92:93], v[52:53]
	v_fmac_f64_e32 v[64:65], v[102:103], v[62:63]
	s_wait_loadcnt_dscnt 0x401
	v_mul_f64_e32 v[102:103], v[98:99], v[48:49]
	v_fma_f64 v[52:53], v[30:31], v[58:59], -v[106:107]
	v_fmac_f64_e32 v[82:83], v[32:33], v[58:59]
	v_mul_f64_e32 v[58:59], v[96:97], v[48:49]
	ds_load_b128 v[30:33], v110 offset:2048
	s_wait_loadcnt_dscnt 0x301
	v_mul_f64_e32 v[84:85], v[28:29], v[16:17]
	v_fma_f64 v[62:63], v[86:87], v[54:55], -v[108:109]
	v_mul_f64_e32 v[16:17], v[26:27], v[16:17]
	s_wait_loadcnt 0x1
	v_mul_f64_e32 v[48:49], v[18:19], v[8:9]
	v_fmac_f64_e32 v[66:67], v[88:89], v[54:55]
	v_mul_f64_e32 v[88:89], v[20:21], v[8:9]
	v_fmac_f64_e32 v[60:61], v[92:93], v[50:51]
	v_fma_f64 v[54:55], v[90:91], v[50:51], -v[100:101]
	s_wait_loadcnt 0x0
	v_mul_f64_e32 v[90:91], v[24:25], v[4:5]
	v_mul_f64_e32 v[50:51], v[22:23], v[4:5]
	s_wait_dscnt 0x0
	v_mul_f64_e32 v[86:87], v[32:33], v[12:13]
	v_mul_f64_e32 v[12:13], v[30:31], v[12:13]
	v_add3_u32 v4, v94, s8, v95
	v_add_f64_e64 v[94:95], v[38:39], -v[56:57]
	v_add_f64_e32 v[38:39], v[38:39], v[56:57]
	s_delay_alu instid0(VALU_DEP_3)
	v_ashrrev_i32_e32 v5, 31, v4
	v_fmac_f64_e32 v[58:59], v[98:99], v[46:47]
	v_fma_f64 v[46:47], v[96:97], v[46:47], -v[102:103]
	v_fma_f64 v[26:27], v[26:27], v[14:15], -v[84:85]
	v_add_f64_e64 v[84:85], v[68:69], -v[64:65]
	v_fmac_f64_e32 v[16:17], v[28:29], v[14:15]
	v_fmac_f64_e32 v[48:49], v[20:21], v[6:7]
	v_add_f64_e64 v[20:21], v[78:79], -v[80:81]
	v_add_f64_e32 v[64:65], v[68:69], v[64:65]
	v_add_f64_e32 v[68:69], v[74:75], v[76:77]
	v_add_f64_e64 v[98:99], v[44:45], -v[34:35]
	v_add_f64_e32 v[34:35], v[44:45], v[34:35]
	v_lshl_add_u64 v[4:5], v[4:5], 3, s[2:3]
	v_add_f64_e64 v[96:97], v[82:83], -v[66:67]
	v_add_f64_e32 v[66:67], v[82:83], v[66:67]
	s_delay_alu instid0(VALU_DEP_3) | instskip(NEXT) | instid1(VALU_DEP_1)
	v_add_co_u32 v8, vcc_lo, 0x8000000, v4
	v_add_co_ci_u32_e64 v9, null, 0, v5, vcc_lo
	v_fma_f64 v[22:23], v[22:23], v[2:3], -v[90:91]
	v_fma_f64 v[28:29], v[30:31], v[10:11], -v[86:87]
	v_fmac_f64_e32 v[12:13], v[32:33], v[10:11]
	v_fma_f64 v[30:31], v[18:19], v[6:7], -v[88:89]
	v_fmac_f64_e32 v[50:51], v[24:25], v[2:3]
	v_add_f64_e64 v[18:19], v[0:1], -v[70:71]
	v_add_f64_e64 v[24:25], v[74:75], -v[76:77]
	;; [unrolled: 1-line block ×5, first 2 shown]
	v_add_f64_e32 v[74:75], v[78:79], v[80:81]
	v_add_f64_e32 v[36:37], v[36:37], v[72:73]
	v_add_f64_e64 v[90:91], v[60:61], -v[58:59]
	v_add_f64_e64 v[100:101], v[54:55], -v[46:47]
	v_add_f64_e32 v[70:71], v[0:1], v[70:71]
	v_add_f64_e32 v[40:41], v[40:41], v[42:43]
	;; [unrolled: 1-line block ×5, first 2 shown]
	v_add_co_u32 v92, vcc_lo, 0x4000000, v4
	s_delay_alu instid0(VALU_DEP_1)
	v_add_co_ci_u32_e64 v93, null, 0, v5, vcc_lo
	v_add_co_u32 v2, vcc_lo, 0xc000000, v4
	v_add_f64_e32 v[108:109], v[94:95], v[96:97]
	v_add_f64_e64 v[52:53], v[64:65], -v[66:67]
	v_add_f64_e32 v[64:65], v[64:65], v[66:67]
	v_add_co_ci_u32_e64 v3, null, 0, v5, vcc_lo
	v_add_co_u32 v6, vcc_lo, 0x1000000, v4
	s_delay_alu instid0(VALU_DEP_1)
	v_add_co_ci_u32_e64 v7, null, 0, v5, vcc_lo
	v_add_f64_e32 v[76:77], v[26:27], v[28:29]
	v_add_f64_e32 v[80:81], v[30:31], v[22:23]
	;; [unrolled: 1-line block ×3, first 2 shown]
	v_add_f64_e64 v[72:73], v[18:19], -v[20:21]
	v_add_f64_e32 v[20:21], v[18:19], v[20:21]
	v_add_f64_e32 v[102:103], v[24:25], v[32:33]
	v_add_f64_e64 v[104:105], v[84:85], -v[86:87]
	v_add_f64_e64 v[24:25], v[24:25], -v[32:33]
	;; [unrolled: 1-line block ×3, first 2 shown]
	v_add_f64_e32 v[56:57], v[84:85], v[86:87]
	v_add_f64_e32 v[106:107], v[88:89], v[90:91]
	;; [unrolled: 1-line block ×4, first 2 shown]
	v_add_f64_e64 v[26:27], v[26:27], -v[28:29]
	v_add_f64_e64 v[28:29], v[48:49], -v[50:51]
	;; [unrolled: 1-line block ×5, first 2 shown]
	v_add_f64_e32 v[68:69], v[68:69], v[74:75]
	v_add_f64_e32 v[74:75], v[70:71], v[36:37]
	v_add_f64_e64 v[36:37], v[70:71], -v[36:37]
	v_add_f64_e64 v[70:71], v[38:39], -v[46:47]
	;; [unrolled: 1-line block ×3, first 2 shown]
	v_mul_f64_e32 v[84:85], 0x3fed906bcf328d46, v[108:109]
	v_mul_f64_e32 v[52:53], 0x3fe6a09e667f3bcd, v[52:53]
	v_add_f64_e64 v[90:91], v[94:95], -v[96:97]
	v_add_f64_e32 v[86:87], v[40:41], v[42:43]
	v_add_f64_e32 v[98:99], v[34:35], v[44:45]
	;; [unrolled: 1-line block ×3, first 2 shown]
	v_add_f64_e64 v[34:35], v[34:35], -v[44:45]
	v_add_f64_e64 v[40:41], v[40:41], -v[42:43]
	v_add_co_u32 v10, vcc_lo, 0x9000000, v4
	v_add_f64_e32 v[22:23], v[76:77], v[80:81]
	v_add_f64_e64 v[46:47], v[76:77], -v[80:81]
	v_mul_f64_e32 v[50:51], 0x3fd87de2a6aea963, v[72:73]
	v_mul_f64_e32 v[100:101], 0x3fed906bcf328d46, v[20:21]
	;; [unrolled: 1-line block ×10, first 2 shown]
	v_add_f64_e32 v[30:31], v[78:79], v[82:83]
	v_add_f64_e64 v[66:67], v[78:79], -v[82:83]
	v_add_f64_e32 v[76:77], v[26:27], v[28:29]
	v_add_f64_e64 v[78:79], v[12:13], -v[16:17]
	v_add_f64_e32 v[12:13], v[12:13], v[16:17]
	v_add_f64_e64 v[26:27], v[26:27], -v[28:29]
	v_add_f64_e32 v[82:83], v[74:75], v[64:65]
	v_add_f64_e64 v[64:65], v[74:75], -v[64:65]
	v_add_co_ci_u32_e64 v11, null, 0, v5, vcc_lo
	v_add_co_u32 v14, vcc_lo, 0x5000000, v4
	v_fmamk_f64 v[16:17], v[70:71], 0xbfe6a09e667f3bcd, v[52:53]
	v_fmac_f64_e32 v[52:53], 0x3fe6a09e667f3bcd, v[70:71]
	v_add_co_ci_u32_e64 v15, null, 0, v5, vcc_lo
	v_add_f64_e64 v[74:75], v[68:69], -v[38:39]
	v_add_co_u32 v0, vcc_lo, 0xd000000, v4
	s_delay_alu instid0(VALU_DEP_1)
	v_add_co_ci_u32_e64 v1, null, 0, v5, vcc_lo
	v_add_f64_e32 v[70:71], v[22:23], v[86:87]
	v_fmac_f64_e32 v[50:51], 0x3fed906bcf328d46, v[102:103]
	v_fmac_f64_e32 v[100:101], 0x3fd87de2a6aea963, v[24:25]
	v_fma_f64 v[42:43], v[72:73], s[0:1], -v[58:59]
	v_fmac_f64_e32 v[60:61], 0x3fd87de2a6aea963, v[108:109]
	v_fma_f64 v[58:59], v[104:105], s[4:5], -v[84:85]
	v_fma_f64 v[24:25], v[36:37], s[6:7], -v[32:33]
	;; [unrolled: 1-line block ×4, first 2 shown]
	v_fmamk_f64 v[28:29], v[88:89], 0xbfe6a09e667f3bcd, v[54:55]
	v_fmac_f64_e32 v[54:55], 0x3fe6a09e667f3bcd, v[88:89]
	v_fmac_f64_e32 v[96:97], 0x3fed906bcf328d46, v[90:91]
	v_fma_f64 v[56:57], v[90:91], s[4:5], -v[56:57]
	v_add_f64_e64 v[72:73], v[22:23], -v[86:87]
	v_fmamk_f64 v[22:23], v[36:37], 0x3fe6a09e667f3bcd, v[32:33]
	v_fmamk_f64 v[32:33], v[48:49], 0x3fe6a09e667f3bcd, v[62:63]
	v_add_f64_e32 v[80:81], v[30:31], v[98:99]
	v_add_f64_e64 v[30:31], v[30:31], -v[98:99]
	v_add_f64_e32 v[36:37], v[68:69], v[38:39]
	v_add_f64_e64 v[68:69], v[66:67], -v[40:41]
	v_add_f64_e32 v[62:63], v[66:67], v[40:41]
	v_add_f64_e32 v[40:41], v[22:23], v[16:17]
	;; [unrolled: 1-line block ×3, first 2 shown]
	v_add_f64_e64 v[16:17], v[22:23], -v[16:17]
	v_add_f64_e64 v[76:77], v[76:77], -v[32:33]
	v_add_f64_e32 v[38:39], v[46:47], v[34:35]
	v_add_f64_e64 v[48:49], v[46:47], -v[34:35]
	v_add_f64_e32 v[94:95], v[26:27], v[28:29]
	v_add_f64_e64 v[98:99], v[26:27], -v[28:29]
	v_add_co_u32 v18, vcc_lo, 0x2000000, v4
	s_delay_alu instid0(VALU_DEP_1) | instskip(SKIP_1) | instid1(VALU_DEP_1)
	v_add_co_ci_u32_e64 v19, null, 0, v5, vcc_lo
	v_add_co_u32 v106, vcc_lo, 0xa000000, v4
	v_add_co_ci_u32_e64 v107, null, 0, v5, vcc_lo
	v_add_f64_e32 v[88:89], v[50:51], v[60:61]
	v_add_f64_e32 v[90:91], v[42:43], v[58:59]
	v_add_f64_e64 v[42:43], v[42:43], -v[58:59]
	v_add_f64_e32 v[86:87], v[78:79], v[44:45]
	v_add_f64_e64 v[44:45], v[78:79], -v[44:45]
	v_add_f64_e64 v[78:79], v[50:51], -v[60:61]
	;; [unrolled: 1-line block ×3, first 2 shown]
	v_add_f64_e32 v[104:105], v[24:25], v[52:53]
	v_add_f64_e64 v[108:109], v[12:13], -v[54:55]
	v_add_f64_e64 v[110:111], v[100:101], -v[96:97]
	v_add_f64_e32 v[112:113], v[20:21], v[56:57]
	v_add_f64_e32 v[12:13], v[12:13], v[54:55]
	v_add_f64_e64 v[114:115], v[20:21], -v[56:57]
	v_add_f64_e32 v[96:97], v[100:101], v[96:97]
	v_add_f64_e64 v[22:23], v[30:31], -v[74:75]
	;; [unrolled: 2-line block ×3, first 2 shown]
	v_add_f64_e64 v[30:31], v[80:81], -v[82:83]
	v_add_f64_e32 v[32:33], v[70:71], v[36:37]
	v_add_f64_e32 v[34:35], v[80:81], v[82:83]
	;; [unrolled: 1-line block ×3, first 2 shown]
	v_add_f64_e64 v[24:25], v[72:73], -v[64:65]
	v_add_f64_e64 v[46:47], v[62:63], -v[16:17]
	v_add_f64_e32 v[50:51], v[62:63], v[16:17]
	v_add_f64_e32 v[36:37], v[38:39], v[40:41]
	v_add_f64_e64 v[40:41], v[38:39], -v[40:41]
	v_add_co_u32 v84, vcc_lo, 0x6000000, v4
	s_delay_alu instid0(VALU_DEP_1)
	v_add_co_ci_u32_e64 v85, null, 0, v5, vcc_lo
	v_add_co_u32 v100, vcc_lo, 0xe000000, v4
	v_add_f64_e32 v[52:53], v[66:67], v[88:89]
	v_add_f64_e64 v[56:57], v[66:67], -v[88:89]
	v_add_f64_e32 v[60:61], v[76:77], v[42:43]
	v_add_f64_e32 v[54:55], v[86:87], v[90:91]
	v_add_f64_e64 v[58:59], v[86:87], -v[90:91]
	v_add_f64_e64 v[62:63], v[44:45], -v[78:79]
	;; [unrolled: 1-line block ×3, first 2 shown]
	v_add_f64_e32 v[66:67], v[44:45], v[78:79]
	v_add_f64_e32 v[38:39], v[68:69], v[102:103]
	v_add_f64_e64 v[42:43], v[68:69], -v[102:103]
	v_add_f64_e32 v[44:45], v[48:49], v[104:105]
	v_add_f64_e64 v[48:49], v[48:49], -v[104:105]
	v_add_f64_e32 v[68:69], v[94:95], v[110:111]
	v_add_f64_e32 v[70:71], v[108:109], v[112:113]
	v_add_f64_e64 v[72:73], v[94:95], -v[110:111]
	v_add_f64_e64 v[74:75], v[108:109], -v[112:113]
	v_add_f64_e32 v[76:77], v[98:99], v[114:115]
	v_add_f64_e64 v[78:79], v[12:13], -v[96:97]
	v_add_f64_e64 v[80:81], v[98:99], -v[114:115]
	v_add_f64_e32 v[82:83], v[12:13], v[96:97]
	v_add_co_ci_u32_e64 v101, null, 0, v5, vcc_lo
	v_add_co_u32 v12, vcc_lo, 0x3000000, v4
	s_delay_alu instid0(VALU_DEP_1) | instskip(SKIP_1) | instid1(VALU_DEP_1)
	v_add_co_ci_u32_e64 v13, null, 0, v5, vcc_lo
	v_add_co_u32 v16, vcc_lo, 0xb000000, v4
	v_add_co_ci_u32_e64 v17, null, 0, v5, vcc_lo
	v_add_co_u32 v86, vcc_lo, 0x7000000, v4
	s_delay_alu instid0(VALU_DEP_1) | instskip(SKIP_1) | instid1(VALU_DEP_1)
	v_add_co_ci_u32_e64 v87, null, 0, v5, vcc_lo
	v_add_co_u32 v88, vcc_lo, 0xf000000, v4
	v_add_co_ci_u32_e64 v89, null, 0, v5, vcc_lo
	s_clause 0xf
	global_store_b128 v[8:9], v[28:31], off
	global_store_b128 v[4:5], v[32:35], off
	;; [unrolled: 1-line block ×16, first 2 shown]
	s_wait_storecnt 0x0
	s_barrier_signal -1
	s_barrier_wait -1
	s_endpgm
	.section	.rodata,"a",@progbits
	.p2align	6, 0x0
	.amdhsa_kernel _Z30ker_zmddft_fwd_256x256x256_cu0PKdPd
		.amdhsa_group_segment_fixed_size 16384
		.amdhsa_private_segment_fixed_size 0
		.amdhsa_kernarg_size 16
		.amdhsa_user_sgpr_count 2
		.amdhsa_user_sgpr_dispatch_ptr 0
		.amdhsa_user_sgpr_queue_ptr 0
		.amdhsa_user_sgpr_kernarg_segment_ptr 1
		.amdhsa_user_sgpr_dispatch_id 0
		.amdhsa_user_sgpr_kernarg_preload_length 0
		.amdhsa_user_sgpr_kernarg_preload_offset 0
		.amdhsa_user_sgpr_private_segment_size 0
		.amdhsa_wavefront_size32 1
		.amdhsa_uses_dynamic_stack 0
		.amdhsa_enable_private_segment 0
		.amdhsa_system_sgpr_workgroup_id_x 1
		.amdhsa_system_sgpr_workgroup_id_y 0
		.amdhsa_system_sgpr_workgroup_id_z 0
		.amdhsa_system_sgpr_workgroup_info 0
		.amdhsa_system_vgpr_workitem_id 0
		.amdhsa_next_free_vgpr 116
		.amdhsa_next_free_sgpr 14
		.amdhsa_named_barrier_count 0
		.amdhsa_reserve_vcc 1
		.amdhsa_float_round_mode_32 0
		.amdhsa_float_round_mode_16_64 0
		.amdhsa_float_denorm_mode_32 3
		.amdhsa_float_denorm_mode_16_64 3
		.amdhsa_fp16_overflow 0
		.amdhsa_memory_ordered 1
		.amdhsa_forward_progress 1
		.amdhsa_inst_pref_size 32
		.amdhsa_round_robin_scheduling 0
		.amdhsa_exception_fp_ieee_invalid_op 0
		.amdhsa_exception_fp_denorm_src 0
		.amdhsa_exception_fp_ieee_div_zero 0
		.amdhsa_exception_fp_ieee_overflow 0
		.amdhsa_exception_fp_ieee_underflow 0
		.amdhsa_exception_fp_ieee_inexact 0
		.amdhsa_exception_int_div_zero 0
	.end_amdhsa_kernel
	.text
.Lfunc_end0:
	.size	_Z30ker_zmddft_fwd_256x256x256_cu0PKdPd, .Lfunc_end0-_Z30ker_zmddft_fwd_256x256x256_cu0PKdPd
                                        ; -- End function
	.set _Z30ker_zmddft_fwd_256x256x256_cu0PKdPd.num_vgpr, 116
	.set _Z30ker_zmddft_fwd_256x256x256_cu0PKdPd.num_agpr, 0
	.set _Z30ker_zmddft_fwd_256x256x256_cu0PKdPd.numbered_sgpr, 14
	.set _Z30ker_zmddft_fwd_256x256x256_cu0PKdPd.num_named_barrier, 0
	.set _Z30ker_zmddft_fwd_256x256x256_cu0PKdPd.private_seg_size, 0
	.set _Z30ker_zmddft_fwd_256x256x256_cu0PKdPd.uses_vcc, 1
	.set _Z30ker_zmddft_fwd_256x256x256_cu0PKdPd.uses_flat_scratch, 0
	.set _Z30ker_zmddft_fwd_256x256x256_cu0PKdPd.has_dyn_sized_stack, 0
	.set _Z30ker_zmddft_fwd_256x256x256_cu0PKdPd.has_recursion, 0
	.set _Z30ker_zmddft_fwd_256x256x256_cu0PKdPd.has_indirect_call, 0
	.section	.AMDGPU.csdata,"",@progbits
; Kernel info:
; codeLenInByte = 4064
; TotalNumSgprs: 16
; NumVgprs: 116
; ScratchSize: 0
; MemoryBound: 0
; FloatMode: 240
; IeeeMode: 1
; LDSByteSize: 16384 bytes/workgroup (compile time only)
; SGPRBlocks: 0
; VGPRBlocks: 7
; NumSGPRsForWavesPerEU: 16
; NumVGPRsForWavesPerEU: 116
; NamedBarCnt: 0
; Occupancy: 8
; WaveLimiterHint : 1
; COMPUTE_PGM_RSRC2:SCRATCH_EN: 0
; COMPUTE_PGM_RSRC2:USER_SGPR: 2
; COMPUTE_PGM_RSRC2:TRAP_HANDLER: 0
; COMPUTE_PGM_RSRC2:TGID_X_EN: 1
; COMPUTE_PGM_RSRC2:TGID_Y_EN: 0
; COMPUTE_PGM_RSRC2:TGID_Z_EN: 0
; COMPUTE_PGM_RSRC2:TIDIG_COMP_CNT: 0
	.text
	.protected	_Z30ker_zmddft_fwd_256x256x256_cu1PKdPd ; -- Begin function _Z30ker_zmddft_fwd_256x256x256_cu1PKdPd
	.globl	_Z30ker_zmddft_fwd_256x256x256_cu1PKdPd
	.p2align	8
	.type	_Z30ker_zmddft_fwd_256x256x256_cu1PKdPd,@function
_Z30ker_zmddft_fwd_256x256x256_cu1PKdPd: ; @_Z30ker_zmddft_fwd_256x256x256_cu1PKdPd
; %bb.0:
	s_bfe_u32 s2, ttmp6, 0x4000c
	v_dual_lshlrev_b32 v1, 5, v0 :: v_dual_bitop2_b32 v94, 15, v0 bitop3:0x40
	s_add_co_i32 s2, s2, 1
	s_and_b32 s4, ttmp6, 15
	s_mul_i32 s6, ttmp9, s2
	s_getreg_b32 s5, hwreg(HW_REG_IB_STS2, 6, 4)
	s_load_b128 s[0:3], s[0:1], 0x0
	s_add_co_i32 s4, s4, s6
	v_and_b32_e32 v1, 0x7e00, v1
	s_cmp_eq_u32 s5, 0
	s_mov_b64 s[6:7], 0x3fe6a09e667f3bcd
	s_cselect_b32 s10, ttmp9, s4
	s_mov_b64 s[4:5], 0x3fd87de2a6aea963
	v_lshl_add_u32 v1, s10, 11, v1
	s_get_pc_i64 s[8:9]
	s_add_nc_u64 s[8:9], s[8:9], _ZL2D3@rel64+68
	s_get_pc_i64 s[12:13]
	s_add_nc_u64 s[12:13], s[12:13], _ZL2D3@rel64+196
	v_lshrrev_b32_e32 v95, 4, v0
	v_lshl_or_b32 v2, v94, 1, v1
	v_lshlrev_b32_e32 v1, 8, v94
	s_delay_alu instid0(VALU_DEP_2) | instskip(SKIP_1) | instid1(VALU_DEP_1)
	v_ashrrev_i32_e32 v3, 31, v2
	s_wait_kmcnt 0x0
	v_lshl_add_u64 v[38:39], v[2:3], 3, s[0:1]
	s_clause 0xf
	global_load_b128 v[18:21], v[38:39], off offset:256
	global_load_b128 v[42:45], v[38:39], off offset:2304
	;; [unrolled: 1-line block ×12, first 2 shown]
	global_load_b128 v[26:29], v[38:39], off
	global_load_b128 v[34:37], v[38:39], off offset:2048
	global_load_b128 v[30:33], v[38:39], off offset:1024
	;; [unrolled: 1-line block ×3, first 2 shown]
	s_mov_b64 s[0:1], 0x3fed906bcf328d46
	s_wait_loadcnt 0xe
	v_add_f64_e64 v[70:71], v[18:19], -v[42:43]
	v_add_f64_e32 v[64:65], v[18:19], v[42:43]
	s_wait_loadcnt 0xc
	v_add_f64_e64 v[74:75], v[24:25], -v[48:49]
	v_add_f64_e32 v[66:67], v[22:23], v[46:47]
	v_add_f64_e64 v[72:73], v[20:21], -v[44:45]
	s_wait_loadcnt 0x9
	v_add_f64_e64 v[68:69], v[2:3], -v[6:7]
	s_wait_loadcnt 0x8
	v_add_f64_e64 v[80:81], v[50:51], -v[54:55]
	v_add_f64_e32 v[62:63], v[52:53], v[56:57]
	s_wait_loadcnt 0x6
	v_add_f64_e64 v[76:77], v[16:17], -v[12:13]
	v_add_f64_e64 v[82:83], v[52:53], -v[56:57]
	s_wait_loadcnt 0x4
	v_add_f64_e64 v[86:87], v[60:61], -v[98:99]
	v_add_f64_e32 v[60:61], v[60:61], v[98:99]
	v_add_f64_e64 v[84:85], v[58:59], -v[96:97]
	v_add_f64_e64 v[78:79], v[22:23], -v[46:47]
	;; [unrolled: 1-line block ×4, first 2 shown]
	v_add_f64_e32 v[20:21], v[20:21], v[44:45]
	v_add_f64_e32 v[48:49], v[24:25], v[48:49]
	;; [unrolled: 1-line block ×5, first 2 shown]
	s_wait_loadcnt 0x2
	v_add_f64_e32 v[18:19], v[26:27], v[34:35]
	v_add_f64_e32 v[42:43], v[28:29], v[36:37]
	s_wait_loadcnt 0x0
	v_add_f64_e32 v[52:53], v[30:31], v[38:39]
	v_add_f64_e32 v[56:57], v[32:33], v[40:41]
	;; [unrolled: 1-line block ×5, first 2 shown]
	v_add_f64_e64 v[12:13], v[26:27], -v[34:35]
	v_add_f64_e64 v[14:15], v[28:29], -v[36:37]
	;; [unrolled: 1-line block ×4, first 2 shown]
	v_add_f64_e32 v[88:89], v[70:71], v[74:75]
	v_add_f64_e64 v[50:51], v[64:65], -v[66:67]
	v_add_f64_e64 v[58:59], v[70:71], -v[74:75]
	v_add_f64_e32 v[64:65], v[64:65], v[66:67]
	v_add_f64_e32 v[90:91], v[68:69], v[76:77]
	v_add_f64_e64 v[68:69], v[68:69], -v[76:77]
	v_add_f64_e32 v[92:93], v[80:81], v[86:87]
	v_add_f64_e64 v[54:55], v[62:63], -v[60:61]
	v_add_f64_e64 v[6:7], v[80:81], -v[86:87]
	v_add_f64_e32 v[70:71], v[82:83], v[84:85]
	v_add_f64_e64 v[32:33], v[72:73], -v[78:79]
	v_add_f64_e64 v[34:35], v[22:23], -v[46:47]
	;; [unrolled: 1-line block ×4, first 2 shown]
	v_add_f64_e32 v[72:73], v[72:73], v[78:79]
	v_add_f64_e64 v[84:85], v[24:25], -v[44:45]
	v_add_f64_e32 v[22:23], v[22:23], v[46:47]
	v_add_f64_e32 v[20:21], v[20:21], v[48:49]
	;; [unrolled: 1-line block ×8, first 2 shown]
	v_add_f64_e64 v[4:5], v[4:5], -v[10:11]
	v_add_f64_e64 v[2:3], v[2:3], -v[8:9]
	;; [unrolled: 1-line block ×3, first 2 shown]
	v_add_f64_e32 v[60:61], v[12:13], v[26:27]
	v_add_f64_e64 v[18:19], v[18:19], -v[52:53]
	v_add_f64_e64 v[42:43], v[42:43], -v[56:57]
	v_mul_f64_e32 v[38:39], 0x3fed906bcf328d46, v[88:89]
	v_mul_f64_e32 v[40:41], 0x3fd87de2a6aea963, v[88:89]
	;; [unrolled: 1-line block ×5, first 2 shown]
	v_add_f64_e64 v[12:13], v[12:13], -v[26:27]
	v_mul_f64_e32 v[74:75], 0x3fe6a09e667f3bcd, v[90:91]
	v_mul_f64_e32 v[68:69], 0x3fe6a09e667f3bcd, v[68:69]
	;; [unrolled: 1-line block ×7, first 2 shown]
	v_add_f64_e32 v[14:15], v[14:15], v[16:17]
	v_add_f64_e32 v[62:63], v[20:21], v[44:45]
	v_add_f64_e64 v[20:21], v[20:21], -v[44:45]
	v_add_f64_e32 v[56:57], v[30:31], v[86:87]
	v_add_f64_e64 v[44:45], v[64:65], -v[24:25]
	v_fmac_f64_e32 v[38:39], 0x3fd87de2a6aea963, v[32:33]
	v_fma_f64 v[10:11], v[32:33], s[0:1], -v[40:41]
	v_fma_f64 v[16:17], v[82:83], s[6:7], -v[50:51]
	v_fmac_f64_e32 v[46:47], 0x3fed906bcf328d46, v[72:73]
	v_fma_f64 v[40:41], v[72:73], s[4:5], -v[58:59]
	v_add_f64_e32 v[58:59], v[64:65], v[24:25]
	v_fma_f64 v[32:33], v[34:35], s[6:7], -v[74:75]
	v_fma_f64 v[52:53], v[22:23], s[6:7], -v[68:69]
	v_fmac_f64_e32 v[76:77], 0x3fed906bcf328d46, v[36:37]
	v_fma_f64 v[36:37], v[36:37], s[4:5], -v[80:81]
	v_fmamk_f64 v[26:27], v[84:85], 0xbfe6a09e667f3bcd, v[54:55]
	v_fmac_f64_e32 v[54:55], 0x3fe6a09e667f3bcd, v[84:85]
	v_fmac_f64_e32 v[68:69], 0x3fe6a09e667f3bcd, v[22:23]
	;; [unrolled: 1-line block ×3, first 2 shown]
	v_fma_f64 v[6:7], v[6:7], s[4:5], -v[78:79]
	v_fmamk_f64 v[34:35], v[34:35], 0x3fe6a09e667f3bcd, v[74:75]
	v_add_f64_e32 v[22:23], v[28:29], v[48:49]
	v_add_f64_e64 v[48:49], v[28:29], -v[48:49]
	v_fmamk_f64 v[28:29], v[82:83], 0x3fe6a09e667f3bcd, v[50:51]
	v_add_f64_e64 v[50:51], v[30:31], -v[86:87]
	v_add_f64_e32 v[64:65], v[18:19], v[4:5]
	v_add_f64_e32 v[70:71], v[42:43], v[2:3]
	;; [unrolled: 1-line block ×3, first 2 shown]
	v_add_f64_e64 v[34:35], v[60:61], -v[34:35]
	v_add_f64_e64 v[2:3], v[42:43], -v[2:3]
	v_add_f64_e32 v[72:73], v[28:29], v[26:27]
	v_add_f64_e64 v[86:87], v[18:19], -v[4:5]
	v_add_f64_e64 v[78:79], v[28:29], -v[26:27]
	;; [unrolled: 1-line block ×3, first 2 shown]
	v_add_f64_e32 v[80:81], v[8:9], v[32:33]
	v_add_f64_e64 v[60:61], v[8:9], -v[32:33]
	v_add_f64_e32 v[82:83], v[38:39], v[76:77]
	v_add_f64_e32 v[84:85], v[10:11], v[36:37]
	v_add_f64_e64 v[36:37], v[10:11], -v[36:37]
	v_add_f64_e64 v[76:77], v[38:39], -v[76:77]
	;; [unrolled: 1-line block ×3, first 2 shown]
	v_add_f64_e32 v[54:55], v[16:17], v[54:55]
	v_add_f64_e32 v[90:91], v[12:13], v[52:53]
	v_add_f64_e64 v[92:93], v[14:15], -v[68:69]
	v_add_f64_e64 v[96:97], v[46:47], -v[66:67]
	v_add_f64_e32 v[98:99], v[40:41], v[6:7]
	v_add_f64_e64 v[100:101], v[12:13], -v[52:53]
	v_add_f64_e32 v[68:69], v[14:15], v[68:69]
	;; [unrolled: 2-line block ×3, first 2 shown]
	v_add_f64_e32 v[30:31], v[22:23], v[58:59]
	v_add_f64_e32 v[32:33], v[56:57], v[62:63]
	v_add_f64_e64 v[26:27], v[22:23], -v[58:59]
	v_add_f64_e32 v[22:23], v[48:49], v[20:21]
	v_add_f64_e64 v[18:19], v[48:49], -v[20:21]
	v_add_f64_e64 v[24:25], v[50:51], -v[44:45]
	v_add_f64_e32 v[20:21], v[50:51], v[44:45]
	v_add_f64_e32 v[14:15], v[64:65], v[72:73]
	v_add_f64_e64 v[10:11], v[64:65], -v[72:73]
	v_add_f64_e64 v[8:9], v[70:71], -v[78:79]
	v_add_f64_e32 v[4:5], v[70:71], v[78:79]
	v_add_f64_e32 v[46:47], v[74:75], v[82:83]
	;; [unrolled: 1-line block ×3, first 2 shown]
	v_add_f64_e64 v[42:43], v[74:75], -v[82:83]
	v_add_f64_e64 v[44:45], v[80:81], -v[84:85]
	v_add_f64_e32 v[38:39], v[34:35], v[36:37]
	v_add_f64_e64 v[40:41], v[60:61], -v[76:77]
	v_add_f64_e64 v[34:35], v[34:35], -v[36:37]
	v_add_f64_e32 v[36:37], v[60:61], v[76:77]
	v_add_f64_e32 v[16:17], v[2:3], v[88:89]
	v_add_f64_e64 v[12:13], v[2:3], -v[88:89]
	v_add_f64_e32 v[6:7], v[86:87], v[54:55]
	v_add_f64_e64 v[2:3], v[86:87], -v[54:55]
	v_add_f64_e32 v[54:55], v[90:91], v[96:97]
	v_add_f64_e32 v[56:57], v[92:93], v[98:99]
	v_add_f64_e64 v[50:51], v[90:91], -v[96:97]
	v_add_f64_e64 v[52:53], v[92:93], -v[98:99]
	v_add_f64_e32 v[58:59], v[100:101], v[102:103]
	v_add_f64_e64 v[60:61], v[68:69], -v[66:67]
	v_add_f64_e64 v[62:63], v[100:101], -v[102:103]
	v_dual_add_f64 v[64:65], v[68:69], v[66:67] :: v_dual_lshlrev_b32 v66, 8, v0
	v_dual_lshlrev_b32 v0, 4, v94 :: v_dual_lshlrev_b32 v94, 17, v94
	ds_store_b128 v66, v[30:33]
	ds_store_b128 v66, v[46:49] offset:16
	ds_store_b128 v66, v[26:29] offset:128
	;; [unrolled: 1-line block ×15, first 2 shown]
	s_wait_dscnt 0x0
	s_barrier_signal -1
	s_barrier_wait -1
	s_clause 0x3
	global_load_b128 v[22:25], v1, s[8:9]
	global_load_b128 v[26:29], v1, s[8:9] offset:16
	global_load_b128 v[34:37], v1, s[8:9] offset:32
	;; [unrolled: 1-line block ×3, first 2 shown]
	s_wait_xcnt 0x0
	s_get_pc_i64 s[8:9]
	s_add_nc_u64 s[8:9], s[8:9], _ZL2D3@rel64+132
	s_clause 0x7
	global_load_b128 v[42:45], v1, s[8:9]
	global_load_b128 v[38:41], v1, s[8:9] offset:16
	global_load_b128 v[66:69], v1, s[12:13]
	global_load_b128 v[62:65], v1, s[12:13] offset:16
	global_load_b128 v[58:61], v1, s[12:13] offset:32
	;; [unrolled: 1-line block ×5, first 2 shown]
	s_wait_xcnt 0x0
	s_get_pc_i64 s[8:9]
	s_add_nc_u64 s[8:9], s[8:9], _ZL2D3@rel64+4
	s_clause 0x3
	global_load_b128 v[14:17], v1, s[8:9]
	global_load_b128 v[10:13], v1, s[8:9] offset:16
	global_load_b128 v[6:9], v1, s[8:9] offset:32
	;; [unrolled: 1-line block ×3, first 2 shown]
	v_lshl_or_b32 v110, v95, 12, v0
	ds_load_b128 v[74:77], v110 offset:256
	ds_load_b128 v[78:81], v110 offset:2304
	;; [unrolled: 1-line block ×7, first 2 shown]
	v_lshlrev_b32_e32 v95, 1, v95
	s_wait_xcnt 0x0
	s_lshl_b32 s8, s10, 3
	s_wait_loadcnt_dscnt 0xf06
	v_mul_f64_e32 v[72:73], v[76:77], v[24:25]
	v_mul_f64_e32 v[0:1], v[74:75], v[24:25]
	s_wait_loadcnt_dscnt 0xe05
	v_mul_f64_e32 v[100:101], v[80:81], v[28:29]
	s_wait_loadcnt_dscnt 0xd04
	v_mul_f64_e32 v[102:103], v[84:85], v[36:37]
	v_mul_f64_e32 v[36:37], v[82:83], v[36:37]
	;; [unrolled: 1-line block ×3, first 2 shown]
	s_wait_loadcnt_dscnt 0xc03
	v_mul_f64_e32 v[104:105], v[88:89], v[32:33]
	s_wait_loadcnt_dscnt 0xb01
	v_mul_f64_e32 v[106:107], v[92:93], v[44:45]
	v_mul_f64_e32 v[44:45], v[90:91], v[44:45]
	v_fma_f64 v[74:75], v[74:75], v[22:23], -v[72:73]
	v_mul_f64_e32 v[72:73], v[86:87], v[32:33]
	v_fmac_f64_e32 v[0:1], v[76:77], v[22:23]
	v_fma_f64 v[76:77], v[78:79], v[26:27], -v[100:101]
	v_fma_f64 v[78:79], v[82:83], v[34:35], -v[102:103]
	v_fmac_f64_e32 v[36:37], v[84:85], v[34:35]
	s_wait_loadcnt_dscnt 0xa00
	v_mul_f64_e32 v[82:83], v[98:99], v[40:41]
	v_mul_f64_e32 v[34:35], v[96:97], v[40:41]
	v_fmac_f64_e32 v[70:71], v[80:81], v[26:27]
	ds_load_b128 v[26:29], v110 offset:768
	ds_load_b128 v[100:103], v110 offset:2816
	v_fma_f64 v[80:81], v[86:87], v[30:31], -v[104:105]
	v_fma_f64 v[40:41], v[90:91], v[42:43], -v[106:107]
	v_fmac_f64_e32 v[44:45], v[92:93], v[42:43]
	ds_load_b128 v[90:93], v110 offset:1536
	ds_load_b128 v[22:25], v110 offset:3072
	v_fmac_f64_e32 v[72:73], v[88:89], v[30:31]
	ds_load_b128 v[30:33], v110 offset:1792
	s_wait_loadcnt_dscnt 0x904
	v_mul_f64_e32 v[84:85], v[28:29], v[68:69]
	v_mul_f64_e32 v[68:69], v[26:27], v[68:69]
	ds_load_b128 v[86:89], v110 offset:3840
	v_fma_f64 v[42:43], v[96:97], v[38:39], -v[82:83]
	v_fmac_f64_e32 v[34:35], v[98:99], v[38:39]
	ds_load_b128 v[96:99], v110 offset:3584
	s_wait_loadcnt_dscnt 0x805
	v_mul_f64_e32 v[104:105], v[102:103], v[64:65]
	v_mul_f64_e32 v[64:65], v[100:101], v[64:65]
	s_wait_loadcnt_dscnt 0x702
	v_mul_f64_e32 v[106:107], v[32:33], v[60:61]
	v_mul_f64_e32 v[82:83], v[30:31], v[60:61]
	s_wait_loadcnt_dscnt 0x601
	v_mul_f64_e32 v[108:109], v[88:89], v[56:57]
	v_fma_f64 v[38:39], v[26:27], v[66:67], -v[84:85]
	v_fmac_f64_e32 v[68:69], v[28:29], v[66:67]
	v_mul_f64_e32 v[66:67], v[86:87], v[56:57]
	ds_load_b128 v[26:29], v110
	s_wait_loadcnt 0x5
	v_mul_f64_e32 v[60:61], v[90:91], v[52:53]
	v_fma_f64 v[56:57], v[100:101], v[62:63], -v[104:105]
	v_mul_f64_e32 v[100:101], v[92:93], v[52:53]
	v_fmac_f64_e32 v[64:65], v[102:103], v[62:63]
	s_wait_loadcnt_dscnt 0x401
	v_mul_f64_e32 v[102:103], v[98:99], v[48:49]
	v_fma_f64 v[52:53], v[30:31], v[58:59], -v[106:107]
	v_fmac_f64_e32 v[82:83], v[32:33], v[58:59]
	v_mul_f64_e32 v[58:59], v[96:97], v[48:49]
	ds_load_b128 v[30:33], v110 offset:2048
	s_wait_loadcnt_dscnt 0x301
	v_mul_f64_e32 v[84:85], v[28:29], v[16:17]
	v_fma_f64 v[62:63], v[86:87], v[54:55], -v[108:109]
	v_mul_f64_e32 v[16:17], v[26:27], v[16:17]
	s_wait_loadcnt 0x1
	v_mul_f64_e32 v[48:49], v[18:19], v[8:9]
	v_fmac_f64_e32 v[66:67], v[88:89], v[54:55]
	v_mul_f64_e32 v[88:89], v[20:21], v[8:9]
	v_fmac_f64_e32 v[60:61], v[92:93], v[50:51]
	v_fma_f64 v[54:55], v[90:91], v[50:51], -v[100:101]
	s_wait_loadcnt 0x0
	v_mul_f64_e32 v[90:91], v[24:25], v[4:5]
	v_mul_f64_e32 v[50:51], v[22:23], v[4:5]
	s_wait_dscnt 0x0
	v_mul_f64_e32 v[86:87], v[32:33], v[12:13]
	v_mul_f64_e32 v[12:13], v[30:31], v[12:13]
	v_add3_u32 v4, v94, s8, v95
	v_add_f64_e64 v[94:95], v[38:39], -v[56:57]
	v_add_f64_e32 v[38:39], v[38:39], v[56:57]
	s_delay_alu instid0(VALU_DEP_3)
	v_ashrrev_i32_e32 v5, 31, v4
	v_fmac_f64_e32 v[58:59], v[98:99], v[46:47]
	v_fma_f64 v[46:47], v[96:97], v[46:47], -v[102:103]
	v_fma_f64 v[26:27], v[26:27], v[14:15], -v[84:85]
	v_add_f64_e64 v[84:85], v[68:69], -v[64:65]
	v_fmac_f64_e32 v[16:17], v[28:29], v[14:15]
	v_fmac_f64_e32 v[48:49], v[20:21], v[6:7]
	v_add_f64_e64 v[20:21], v[78:79], -v[80:81]
	v_add_f64_e32 v[64:65], v[68:69], v[64:65]
	v_add_f64_e32 v[68:69], v[74:75], v[76:77]
	v_add_f64_e64 v[98:99], v[44:45], -v[34:35]
	v_add_f64_e32 v[34:35], v[44:45], v[34:35]
	v_lshl_add_u64 v[4:5], v[4:5], 3, s[2:3]
	v_add_f64_e64 v[96:97], v[82:83], -v[66:67]
	v_add_f64_e32 v[66:67], v[82:83], v[66:67]
	s_delay_alu instid0(VALU_DEP_3) | instskip(NEXT) | instid1(VALU_DEP_1)
	v_add_co_u32 v8, vcc_lo, 0x8000000, v4
	v_add_co_ci_u32_e64 v9, null, 0, v5, vcc_lo
	v_fma_f64 v[22:23], v[22:23], v[2:3], -v[90:91]
	v_fma_f64 v[28:29], v[30:31], v[10:11], -v[86:87]
	v_fmac_f64_e32 v[12:13], v[32:33], v[10:11]
	v_fma_f64 v[30:31], v[18:19], v[6:7], -v[88:89]
	v_fmac_f64_e32 v[50:51], v[24:25], v[2:3]
	v_add_f64_e64 v[18:19], v[0:1], -v[70:71]
	v_add_f64_e64 v[24:25], v[74:75], -v[76:77]
	v_add_f64_e64 v[32:33], v[36:37], -v[72:73]
	v_add_f64_e64 v[86:87], v[52:53], -v[62:63]
	v_add_f64_e64 v[88:89], v[40:41], -v[42:43]
	v_add_f64_e32 v[74:75], v[78:79], v[80:81]
	v_add_f64_e32 v[36:37], v[36:37], v[72:73]
	v_add_f64_e64 v[90:91], v[60:61], -v[58:59]
	v_add_f64_e64 v[100:101], v[54:55], -v[46:47]
	v_add_f64_e32 v[70:71], v[0:1], v[70:71]
	v_add_f64_e32 v[40:41], v[40:41], v[42:43]
	;; [unrolled: 1-line block ×5, first 2 shown]
	v_add_co_u32 v92, vcc_lo, 0x4000000, v4
	s_delay_alu instid0(VALU_DEP_1)
	v_add_co_ci_u32_e64 v93, null, 0, v5, vcc_lo
	v_add_co_u32 v2, vcc_lo, 0xc000000, v4
	v_add_f64_e32 v[108:109], v[94:95], v[96:97]
	v_add_f64_e64 v[52:53], v[64:65], -v[66:67]
	v_add_f64_e32 v[64:65], v[64:65], v[66:67]
	v_add_co_ci_u32_e64 v3, null, 0, v5, vcc_lo
	v_add_co_u32 v6, vcc_lo, 0x1000000, v4
	s_delay_alu instid0(VALU_DEP_1)
	v_add_co_ci_u32_e64 v7, null, 0, v5, vcc_lo
	v_add_f64_e32 v[76:77], v[26:27], v[28:29]
	v_add_f64_e32 v[80:81], v[30:31], v[22:23]
	;; [unrolled: 1-line block ×3, first 2 shown]
	v_add_f64_e64 v[72:73], v[18:19], -v[20:21]
	v_add_f64_e32 v[20:21], v[18:19], v[20:21]
	v_add_f64_e32 v[102:103], v[24:25], v[32:33]
	v_add_f64_e64 v[104:105], v[84:85], -v[86:87]
	v_add_f64_e64 v[24:25], v[24:25], -v[32:33]
	;; [unrolled: 1-line block ×3, first 2 shown]
	v_add_f64_e32 v[56:57], v[84:85], v[86:87]
	v_add_f64_e32 v[106:107], v[88:89], v[90:91]
	;; [unrolled: 1-line block ×4, first 2 shown]
	v_add_f64_e64 v[26:27], v[26:27], -v[28:29]
	v_add_f64_e64 v[28:29], v[48:49], -v[50:51]
	;; [unrolled: 1-line block ×5, first 2 shown]
	v_add_f64_e32 v[68:69], v[68:69], v[74:75]
	v_add_f64_e32 v[74:75], v[70:71], v[36:37]
	v_add_f64_e64 v[36:37], v[70:71], -v[36:37]
	v_add_f64_e64 v[70:71], v[38:39], -v[46:47]
	;; [unrolled: 1-line block ×3, first 2 shown]
	v_mul_f64_e32 v[84:85], 0x3fed906bcf328d46, v[108:109]
	v_mul_f64_e32 v[52:53], 0x3fe6a09e667f3bcd, v[52:53]
	v_add_f64_e64 v[90:91], v[94:95], -v[96:97]
	v_add_f64_e32 v[86:87], v[40:41], v[42:43]
	v_add_f64_e32 v[98:99], v[34:35], v[44:45]
	v_add_f64_e32 v[38:39], v[38:39], v[46:47]
	v_add_f64_e64 v[34:35], v[34:35], -v[44:45]
	v_add_f64_e64 v[40:41], v[40:41], -v[42:43]
	v_add_co_u32 v10, vcc_lo, 0x9000000, v4
	v_add_f64_e32 v[22:23], v[76:77], v[80:81]
	v_add_f64_e64 v[46:47], v[76:77], -v[80:81]
	v_mul_f64_e32 v[50:51], 0x3fd87de2a6aea963, v[72:73]
	v_mul_f64_e32 v[100:101], 0x3fed906bcf328d46, v[20:21]
	;; [unrolled: 1-line block ×10, first 2 shown]
	v_add_f64_e32 v[30:31], v[78:79], v[82:83]
	v_add_f64_e64 v[66:67], v[78:79], -v[82:83]
	v_add_f64_e32 v[76:77], v[26:27], v[28:29]
	v_add_f64_e64 v[78:79], v[12:13], -v[16:17]
	;; [unrolled: 2-line block ×4, first 2 shown]
	v_add_co_ci_u32_e64 v11, null, 0, v5, vcc_lo
	v_add_co_u32 v14, vcc_lo, 0x5000000, v4
	v_fmamk_f64 v[16:17], v[70:71], 0xbfe6a09e667f3bcd, v[52:53]
	v_fmac_f64_e32 v[52:53], 0x3fe6a09e667f3bcd, v[70:71]
	v_add_co_ci_u32_e64 v15, null, 0, v5, vcc_lo
	v_add_f64_e64 v[74:75], v[68:69], -v[38:39]
	v_add_co_u32 v0, vcc_lo, 0xd000000, v4
	s_delay_alu instid0(VALU_DEP_1)
	v_add_co_ci_u32_e64 v1, null, 0, v5, vcc_lo
	v_add_f64_e32 v[70:71], v[22:23], v[86:87]
	v_fmac_f64_e32 v[50:51], 0x3fed906bcf328d46, v[102:103]
	v_fmac_f64_e32 v[100:101], 0x3fd87de2a6aea963, v[24:25]
	v_fma_f64 v[42:43], v[72:73], s[0:1], -v[58:59]
	v_fmac_f64_e32 v[60:61], 0x3fd87de2a6aea963, v[108:109]
	v_fma_f64 v[58:59], v[104:105], s[4:5], -v[84:85]
	v_fma_f64 v[24:25], v[36:37], s[6:7], -v[32:33]
	;; [unrolled: 1-line block ×4, first 2 shown]
	v_fmamk_f64 v[28:29], v[88:89], 0xbfe6a09e667f3bcd, v[54:55]
	v_fmac_f64_e32 v[54:55], 0x3fe6a09e667f3bcd, v[88:89]
	v_fmac_f64_e32 v[96:97], 0x3fed906bcf328d46, v[90:91]
	v_fma_f64 v[56:57], v[90:91], s[4:5], -v[56:57]
	v_add_f64_e64 v[72:73], v[22:23], -v[86:87]
	v_fmamk_f64 v[22:23], v[36:37], 0x3fe6a09e667f3bcd, v[32:33]
	v_fmamk_f64 v[32:33], v[48:49], 0x3fe6a09e667f3bcd, v[62:63]
	v_add_f64_e32 v[80:81], v[30:31], v[98:99]
	v_add_f64_e64 v[30:31], v[30:31], -v[98:99]
	v_add_f64_e32 v[36:37], v[68:69], v[38:39]
	v_add_f64_e64 v[68:69], v[66:67], -v[40:41]
	v_add_f64_e32 v[62:63], v[66:67], v[40:41]
	v_add_f64_e32 v[40:41], v[22:23], v[16:17]
	;; [unrolled: 1-line block ×3, first 2 shown]
	v_add_f64_e64 v[16:17], v[22:23], -v[16:17]
	v_add_f64_e64 v[76:77], v[76:77], -v[32:33]
	v_add_f64_e32 v[38:39], v[46:47], v[34:35]
	v_add_f64_e64 v[48:49], v[46:47], -v[34:35]
	v_add_f64_e32 v[94:95], v[26:27], v[28:29]
	v_add_f64_e64 v[98:99], v[26:27], -v[28:29]
	v_add_co_u32 v18, vcc_lo, 0x2000000, v4
	s_delay_alu instid0(VALU_DEP_1) | instskip(SKIP_1) | instid1(VALU_DEP_1)
	v_add_co_ci_u32_e64 v19, null, 0, v5, vcc_lo
	v_add_co_u32 v106, vcc_lo, 0xa000000, v4
	v_add_co_ci_u32_e64 v107, null, 0, v5, vcc_lo
	v_add_f64_e32 v[88:89], v[50:51], v[60:61]
	v_add_f64_e32 v[90:91], v[42:43], v[58:59]
	v_add_f64_e64 v[42:43], v[42:43], -v[58:59]
	v_add_f64_e32 v[86:87], v[78:79], v[44:45]
	v_add_f64_e64 v[44:45], v[78:79], -v[44:45]
	v_add_f64_e64 v[78:79], v[50:51], -v[60:61]
	;; [unrolled: 1-line block ×3, first 2 shown]
	v_add_f64_e32 v[104:105], v[24:25], v[52:53]
	v_add_f64_e64 v[108:109], v[12:13], -v[54:55]
	v_add_f64_e64 v[110:111], v[100:101], -v[96:97]
	v_add_f64_e32 v[112:113], v[20:21], v[56:57]
	v_add_f64_e32 v[12:13], v[12:13], v[54:55]
	v_add_f64_e64 v[114:115], v[20:21], -v[56:57]
	v_add_f64_e32 v[96:97], v[100:101], v[96:97]
	v_add_f64_e64 v[22:23], v[30:31], -v[74:75]
	;; [unrolled: 2-line block ×3, first 2 shown]
	v_add_f64_e64 v[30:31], v[80:81], -v[82:83]
	v_add_f64_e32 v[32:33], v[70:71], v[36:37]
	v_add_f64_e32 v[34:35], v[80:81], v[82:83]
	;; [unrolled: 1-line block ×3, first 2 shown]
	v_add_f64_e64 v[24:25], v[72:73], -v[64:65]
	v_add_f64_e64 v[46:47], v[62:63], -v[16:17]
	v_add_f64_e32 v[50:51], v[62:63], v[16:17]
	v_add_f64_e32 v[36:37], v[38:39], v[40:41]
	v_add_f64_e64 v[40:41], v[38:39], -v[40:41]
	v_add_co_u32 v84, vcc_lo, 0x6000000, v4
	s_delay_alu instid0(VALU_DEP_1)
	v_add_co_ci_u32_e64 v85, null, 0, v5, vcc_lo
	v_add_co_u32 v100, vcc_lo, 0xe000000, v4
	v_add_f64_e32 v[52:53], v[66:67], v[88:89]
	v_add_f64_e64 v[56:57], v[66:67], -v[88:89]
	v_add_f64_e32 v[60:61], v[76:77], v[42:43]
	v_add_f64_e32 v[54:55], v[86:87], v[90:91]
	v_add_f64_e64 v[58:59], v[86:87], -v[90:91]
	v_add_f64_e64 v[62:63], v[44:45], -v[78:79]
	;; [unrolled: 1-line block ×3, first 2 shown]
	v_add_f64_e32 v[66:67], v[44:45], v[78:79]
	v_add_f64_e32 v[38:39], v[68:69], v[102:103]
	v_add_f64_e64 v[42:43], v[68:69], -v[102:103]
	v_add_f64_e32 v[44:45], v[48:49], v[104:105]
	v_add_f64_e64 v[48:49], v[48:49], -v[104:105]
	v_add_f64_e32 v[68:69], v[94:95], v[110:111]
	v_add_f64_e32 v[70:71], v[108:109], v[112:113]
	v_add_f64_e64 v[72:73], v[94:95], -v[110:111]
	v_add_f64_e64 v[74:75], v[108:109], -v[112:113]
	v_add_f64_e32 v[76:77], v[98:99], v[114:115]
	v_add_f64_e64 v[78:79], v[12:13], -v[96:97]
	v_add_f64_e64 v[80:81], v[98:99], -v[114:115]
	v_add_f64_e32 v[82:83], v[12:13], v[96:97]
	v_add_co_ci_u32_e64 v101, null, 0, v5, vcc_lo
	v_add_co_u32 v12, vcc_lo, 0x3000000, v4
	s_delay_alu instid0(VALU_DEP_1) | instskip(SKIP_1) | instid1(VALU_DEP_1)
	v_add_co_ci_u32_e64 v13, null, 0, v5, vcc_lo
	v_add_co_u32 v16, vcc_lo, 0xb000000, v4
	v_add_co_ci_u32_e64 v17, null, 0, v5, vcc_lo
	v_add_co_u32 v86, vcc_lo, 0x7000000, v4
	s_delay_alu instid0(VALU_DEP_1) | instskip(SKIP_1) | instid1(VALU_DEP_1)
	v_add_co_ci_u32_e64 v87, null, 0, v5, vcc_lo
	v_add_co_u32 v88, vcc_lo, 0xf000000, v4
	v_add_co_ci_u32_e64 v89, null, 0, v5, vcc_lo
	s_clause 0xf
	global_store_b128 v[8:9], v[28:31], off
	global_store_b128 v[4:5], v[32:35], off
	;; [unrolled: 1-line block ×16, first 2 shown]
	s_wait_storecnt 0x0
	s_barrier_signal -1
	s_barrier_wait -1
	s_endpgm
	.section	.rodata,"a",@progbits
	.p2align	6, 0x0
	.amdhsa_kernel _Z30ker_zmddft_fwd_256x256x256_cu1PKdPd
		.amdhsa_group_segment_fixed_size 16384
		.amdhsa_private_segment_fixed_size 0
		.amdhsa_kernarg_size 16
		.amdhsa_user_sgpr_count 2
		.amdhsa_user_sgpr_dispatch_ptr 0
		.amdhsa_user_sgpr_queue_ptr 0
		.amdhsa_user_sgpr_kernarg_segment_ptr 1
		.amdhsa_user_sgpr_dispatch_id 0
		.amdhsa_user_sgpr_kernarg_preload_length 0
		.amdhsa_user_sgpr_kernarg_preload_offset 0
		.amdhsa_user_sgpr_private_segment_size 0
		.amdhsa_wavefront_size32 1
		.amdhsa_uses_dynamic_stack 0
		.amdhsa_enable_private_segment 0
		.amdhsa_system_sgpr_workgroup_id_x 1
		.amdhsa_system_sgpr_workgroup_id_y 0
		.amdhsa_system_sgpr_workgroup_id_z 0
		.amdhsa_system_sgpr_workgroup_info 0
		.amdhsa_system_vgpr_workitem_id 0
		.amdhsa_next_free_vgpr 116
		.amdhsa_next_free_sgpr 14
		.amdhsa_named_barrier_count 0
		.amdhsa_reserve_vcc 1
		.amdhsa_float_round_mode_32 0
		.amdhsa_float_round_mode_16_64 0
		.amdhsa_float_denorm_mode_32 3
		.amdhsa_float_denorm_mode_16_64 3
		.amdhsa_fp16_overflow 0
		.amdhsa_memory_ordered 1
		.amdhsa_forward_progress 1
		.amdhsa_inst_pref_size 32
		.amdhsa_round_robin_scheduling 0
		.amdhsa_exception_fp_ieee_invalid_op 0
		.amdhsa_exception_fp_denorm_src 0
		.amdhsa_exception_fp_ieee_div_zero 0
		.amdhsa_exception_fp_ieee_overflow 0
		.amdhsa_exception_fp_ieee_underflow 0
		.amdhsa_exception_fp_ieee_inexact 0
		.amdhsa_exception_int_div_zero 0
	.end_amdhsa_kernel
	.text
.Lfunc_end1:
	.size	_Z30ker_zmddft_fwd_256x256x256_cu1PKdPd, .Lfunc_end1-_Z30ker_zmddft_fwd_256x256x256_cu1PKdPd
                                        ; -- End function
	.set _Z30ker_zmddft_fwd_256x256x256_cu1PKdPd.num_vgpr, 116
	.set _Z30ker_zmddft_fwd_256x256x256_cu1PKdPd.num_agpr, 0
	.set _Z30ker_zmddft_fwd_256x256x256_cu1PKdPd.numbered_sgpr, 14
	.set _Z30ker_zmddft_fwd_256x256x256_cu1PKdPd.num_named_barrier, 0
	.set _Z30ker_zmddft_fwd_256x256x256_cu1PKdPd.private_seg_size, 0
	.set _Z30ker_zmddft_fwd_256x256x256_cu1PKdPd.uses_vcc, 1
	.set _Z30ker_zmddft_fwd_256x256x256_cu1PKdPd.uses_flat_scratch, 0
	.set _Z30ker_zmddft_fwd_256x256x256_cu1PKdPd.has_dyn_sized_stack, 0
	.set _Z30ker_zmddft_fwd_256x256x256_cu1PKdPd.has_recursion, 0
	.set _Z30ker_zmddft_fwd_256x256x256_cu1PKdPd.has_indirect_call, 0
	.section	.AMDGPU.csdata,"",@progbits
; Kernel info:
; codeLenInByte = 4064
; TotalNumSgprs: 16
; NumVgprs: 116
; ScratchSize: 0
; MemoryBound: 0
; FloatMode: 240
; IeeeMode: 1
; LDSByteSize: 16384 bytes/workgroup (compile time only)
; SGPRBlocks: 0
; VGPRBlocks: 7
; NumSGPRsForWavesPerEU: 16
; NumVGPRsForWavesPerEU: 116
; NamedBarCnt: 0
; Occupancy: 8
; WaveLimiterHint : 1
; COMPUTE_PGM_RSRC2:SCRATCH_EN: 0
; COMPUTE_PGM_RSRC2:USER_SGPR: 2
; COMPUTE_PGM_RSRC2:TRAP_HANDLER: 0
; COMPUTE_PGM_RSRC2:TGID_X_EN: 1
; COMPUTE_PGM_RSRC2:TGID_Y_EN: 0
; COMPUTE_PGM_RSRC2:TGID_Z_EN: 0
; COMPUTE_PGM_RSRC2:TIDIG_COMP_CNT: 0
	.text
	.protected	_Z30ker_zmddft_fwd_256x256x256_cu2PKdPd ; -- Begin function _Z30ker_zmddft_fwd_256x256x256_cu2PKdPd
	.globl	_Z30ker_zmddft_fwd_256x256x256_cu2PKdPd
	.p2align	8
	.type	_Z30ker_zmddft_fwd_256x256x256_cu2PKdPd,@function
_Z30ker_zmddft_fwd_256x256x256_cu2PKdPd: ; @_Z30ker_zmddft_fwd_256x256x256_cu2PKdPd
; %bb.0:
	s_bfe_u32 s2, ttmp6, 0x4000c
	v_dual_lshlrev_b32 v1, 5, v0 :: v_dual_bitop2_b32 v94, 15, v0 bitop3:0x40
	s_add_co_i32 s2, s2, 1
	s_and_b32 s4, ttmp6, 15
	s_mul_i32 s6, ttmp9, s2
	s_getreg_b32 s5, hwreg(HW_REG_IB_STS2, 6, 4)
	s_load_b128 s[0:3], s[0:1], 0x0
	s_add_co_i32 s4, s4, s6
	v_and_b32_e32 v1, 0x7e00, v1
	s_cmp_eq_u32 s5, 0
	s_mov_b64 s[6:7], 0x3fe6a09e667f3bcd
	s_cselect_b32 s10, ttmp9, s4
	s_mov_b64 s[4:5], 0x3fd87de2a6aea963
	v_lshl_add_u32 v1, s10, 11, v1
	s_get_pc_i64 s[8:9]
	s_add_nc_u64 s[8:9], s[8:9], _ZL2D3@rel64+68
	s_get_pc_i64 s[12:13]
	s_add_nc_u64 s[12:13], s[12:13], _ZL2D3@rel64+196
	v_lshrrev_b32_e32 v95, 4, v0
	v_lshl_or_b32 v2, v94, 1, v1
	v_lshlrev_b32_e32 v1, 8, v94
	s_delay_alu instid0(VALU_DEP_2) | instskip(SKIP_1) | instid1(VALU_DEP_1)
	v_ashrrev_i32_e32 v3, 31, v2
	s_wait_kmcnt 0x0
	v_lshl_add_u64 v[38:39], v[2:3], 3, s[0:1]
	s_clause 0xf
	global_load_b128 v[18:21], v[38:39], off offset:256
	global_load_b128 v[42:45], v[38:39], off offset:2304
	;; [unrolled: 1-line block ×12, first 2 shown]
	global_load_b128 v[26:29], v[38:39], off
	global_load_b128 v[34:37], v[38:39], off offset:2048
	global_load_b128 v[30:33], v[38:39], off offset:1024
	;; [unrolled: 1-line block ×3, first 2 shown]
	s_mov_b64 s[0:1], 0x3fed906bcf328d46
	s_wait_loadcnt 0xe
	v_add_f64_e64 v[70:71], v[18:19], -v[42:43]
	v_add_f64_e32 v[64:65], v[18:19], v[42:43]
	s_wait_loadcnt 0xc
	v_add_f64_e64 v[74:75], v[24:25], -v[48:49]
	v_add_f64_e32 v[66:67], v[22:23], v[46:47]
	v_add_f64_e64 v[72:73], v[20:21], -v[44:45]
	s_wait_loadcnt 0x9
	v_add_f64_e64 v[68:69], v[2:3], -v[6:7]
	s_wait_loadcnt 0x8
	v_add_f64_e64 v[80:81], v[50:51], -v[54:55]
	v_add_f64_e32 v[62:63], v[52:53], v[56:57]
	s_wait_loadcnt 0x6
	v_add_f64_e64 v[76:77], v[16:17], -v[12:13]
	v_add_f64_e64 v[82:83], v[52:53], -v[56:57]
	s_wait_loadcnt 0x4
	v_add_f64_e64 v[86:87], v[60:61], -v[98:99]
	v_add_f64_e32 v[60:61], v[60:61], v[98:99]
	v_add_f64_e64 v[84:85], v[58:59], -v[96:97]
	v_add_f64_e64 v[78:79], v[22:23], -v[46:47]
	;; [unrolled: 1-line block ×4, first 2 shown]
	v_add_f64_e32 v[20:21], v[20:21], v[44:45]
	v_add_f64_e32 v[48:49], v[24:25], v[48:49]
	;; [unrolled: 1-line block ×5, first 2 shown]
	s_wait_loadcnt 0x2
	v_add_f64_e32 v[18:19], v[26:27], v[34:35]
	v_add_f64_e32 v[42:43], v[28:29], v[36:37]
	s_wait_loadcnt 0x0
	v_add_f64_e32 v[52:53], v[30:31], v[38:39]
	v_add_f64_e32 v[56:57], v[32:33], v[40:41]
	;; [unrolled: 1-line block ×5, first 2 shown]
	v_add_f64_e64 v[12:13], v[26:27], -v[34:35]
	v_add_f64_e64 v[14:15], v[28:29], -v[36:37]
	v_add_f64_e64 v[16:17], v[30:31], -v[38:39]
	v_add_f64_e64 v[26:27], v[32:33], -v[40:41]
	v_add_f64_e32 v[88:89], v[70:71], v[74:75]
	v_add_f64_e64 v[50:51], v[64:65], -v[66:67]
	v_add_f64_e64 v[58:59], v[70:71], -v[74:75]
	v_add_f64_e32 v[64:65], v[64:65], v[66:67]
	v_add_f64_e32 v[90:91], v[68:69], v[76:77]
	v_add_f64_e64 v[68:69], v[68:69], -v[76:77]
	v_add_f64_e32 v[92:93], v[80:81], v[86:87]
	v_add_f64_e64 v[54:55], v[62:63], -v[60:61]
	v_add_f64_e64 v[6:7], v[80:81], -v[86:87]
	v_add_f64_e32 v[70:71], v[82:83], v[84:85]
	v_add_f64_e64 v[32:33], v[72:73], -v[78:79]
	v_add_f64_e64 v[34:35], v[22:23], -v[46:47]
	;; [unrolled: 1-line block ×4, first 2 shown]
	v_add_f64_e32 v[72:73], v[72:73], v[78:79]
	v_add_f64_e64 v[84:85], v[24:25], -v[44:45]
	v_add_f64_e32 v[22:23], v[22:23], v[46:47]
	v_add_f64_e32 v[20:21], v[20:21], v[48:49]
	v_add_f64_e32 v[24:25], v[24:25], v[44:45]
	v_add_f64_e32 v[28:29], v[18:19], v[52:53]
	v_add_f64_e32 v[30:31], v[42:43], v[56:57]
	v_add_f64_e32 v[44:45], v[62:63], v[60:61]
	v_add_f64_e32 v[48:49], v[2:3], v[8:9]
	v_add_f64_e32 v[86:87], v[4:5], v[10:11]
	v_add_f64_e64 v[4:5], v[4:5], -v[10:11]
	v_add_f64_e64 v[2:3], v[2:3], -v[8:9]
	;; [unrolled: 1-line block ×3, first 2 shown]
	v_add_f64_e32 v[60:61], v[12:13], v[26:27]
	v_add_f64_e64 v[18:19], v[18:19], -v[52:53]
	v_add_f64_e64 v[42:43], v[42:43], -v[56:57]
	v_mul_f64_e32 v[38:39], 0x3fed906bcf328d46, v[88:89]
	v_mul_f64_e32 v[40:41], 0x3fd87de2a6aea963, v[88:89]
	;; [unrolled: 1-line block ×5, first 2 shown]
	v_add_f64_e64 v[12:13], v[12:13], -v[26:27]
	v_mul_f64_e32 v[74:75], 0x3fe6a09e667f3bcd, v[90:91]
	v_mul_f64_e32 v[68:69], 0x3fe6a09e667f3bcd, v[68:69]
	;; [unrolled: 1-line block ×7, first 2 shown]
	v_add_f64_e32 v[14:15], v[14:15], v[16:17]
	v_add_f64_e32 v[62:63], v[20:21], v[44:45]
	v_add_f64_e64 v[20:21], v[20:21], -v[44:45]
	v_add_f64_e32 v[56:57], v[30:31], v[86:87]
	v_add_f64_e64 v[44:45], v[64:65], -v[24:25]
	v_fmac_f64_e32 v[38:39], 0x3fd87de2a6aea963, v[32:33]
	v_fma_f64 v[10:11], v[32:33], s[0:1], -v[40:41]
	v_fma_f64 v[16:17], v[82:83], s[6:7], -v[50:51]
	v_fmac_f64_e32 v[46:47], 0x3fed906bcf328d46, v[72:73]
	v_fma_f64 v[40:41], v[72:73], s[4:5], -v[58:59]
	v_add_f64_e32 v[58:59], v[64:65], v[24:25]
	v_fma_f64 v[32:33], v[34:35], s[6:7], -v[74:75]
	v_fma_f64 v[52:53], v[22:23], s[6:7], -v[68:69]
	v_fmac_f64_e32 v[76:77], 0x3fed906bcf328d46, v[36:37]
	v_fma_f64 v[36:37], v[36:37], s[4:5], -v[80:81]
	v_fmamk_f64 v[26:27], v[84:85], 0xbfe6a09e667f3bcd, v[54:55]
	v_fmac_f64_e32 v[54:55], 0x3fe6a09e667f3bcd, v[84:85]
	v_fmac_f64_e32 v[68:69], 0x3fe6a09e667f3bcd, v[22:23]
	;; [unrolled: 1-line block ×3, first 2 shown]
	v_fma_f64 v[6:7], v[6:7], s[4:5], -v[78:79]
	v_fmamk_f64 v[34:35], v[34:35], 0x3fe6a09e667f3bcd, v[74:75]
	v_add_f64_e32 v[22:23], v[28:29], v[48:49]
	v_add_f64_e64 v[48:49], v[28:29], -v[48:49]
	v_fmamk_f64 v[28:29], v[82:83], 0x3fe6a09e667f3bcd, v[50:51]
	v_add_f64_e64 v[50:51], v[30:31], -v[86:87]
	v_add_f64_e32 v[64:65], v[18:19], v[4:5]
	v_add_f64_e32 v[70:71], v[42:43], v[2:3]
	;; [unrolled: 1-line block ×3, first 2 shown]
	v_add_f64_e64 v[34:35], v[60:61], -v[34:35]
	v_add_f64_e64 v[2:3], v[42:43], -v[2:3]
	v_add_f64_e32 v[72:73], v[28:29], v[26:27]
	v_add_f64_e64 v[86:87], v[18:19], -v[4:5]
	v_add_f64_e64 v[78:79], v[28:29], -v[26:27]
	;; [unrolled: 1-line block ×3, first 2 shown]
	v_add_f64_e32 v[80:81], v[8:9], v[32:33]
	v_add_f64_e64 v[60:61], v[8:9], -v[32:33]
	v_add_f64_e32 v[82:83], v[38:39], v[76:77]
	v_add_f64_e32 v[84:85], v[10:11], v[36:37]
	v_add_f64_e64 v[36:37], v[10:11], -v[36:37]
	v_add_f64_e64 v[76:77], v[38:39], -v[76:77]
	;; [unrolled: 1-line block ×3, first 2 shown]
	v_add_f64_e32 v[54:55], v[16:17], v[54:55]
	v_add_f64_e32 v[90:91], v[12:13], v[52:53]
	v_add_f64_e64 v[92:93], v[14:15], -v[68:69]
	v_add_f64_e64 v[96:97], v[46:47], -v[66:67]
	v_add_f64_e32 v[98:99], v[40:41], v[6:7]
	v_add_f64_e64 v[100:101], v[12:13], -v[52:53]
	v_add_f64_e32 v[68:69], v[14:15], v[68:69]
	;; [unrolled: 2-line block ×3, first 2 shown]
	v_add_f64_e32 v[30:31], v[22:23], v[58:59]
	v_add_f64_e32 v[32:33], v[56:57], v[62:63]
	v_add_f64_e64 v[26:27], v[22:23], -v[58:59]
	v_add_f64_e32 v[22:23], v[48:49], v[20:21]
	v_add_f64_e64 v[18:19], v[48:49], -v[20:21]
	v_add_f64_e64 v[24:25], v[50:51], -v[44:45]
	v_add_f64_e32 v[20:21], v[50:51], v[44:45]
	v_add_f64_e32 v[14:15], v[64:65], v[72:73]
	v_add_f64_e64 v[10:11], v[64:65], -v[72:73]
	v_add_f64_e64 v[8:9], v[70:71], -v[78:79]
	v_add_f64_e32 v[4:5], v[70:71], v[78:79]
	v_add_f64_e32 v[46:47], v[74:75], v[82:83]
	;; [unrolled: 1-line block ×3, first 2 shown]
	v_add_f64_e64 v[42:43], v[74:75], -v[82:83]
	v_add_f64_e64 v[44:45], v[80:81], -v[84:85]
	v_add_f64_e32 v[38:39], v[34:35], v[36:37]
	v_add_f64_e64 v[40:41], v[60:61], -v[76:77]
	v_add_f64_e64 v[34:35], v[34:35], -v[36:37]
	v_add_f64_e32 v[36:37], v[60:61], v[76:77]
	v_add_f64_e32 v[16:17], v[2:3], v[88:89]
	v_add_f64_e64 v[12:13], v[2:3], -v[88:89]
	v_add_f64_e32 v[6:7], v[86:87], v[54:55]
	v_add_f64_e64 v[2:3], v[86:87], -v[54:55]
	v_add_f64_e32 v[54:55], v[90:91], v[96:97]
	v_add_f64_e32 v[56:57], v[92:93], v[98:99]
	v_add_f64_e64 v[50:51], v[90:91], -v[96:97]
	v_add_f64_e64 v[52:53], v[92:93], -v[98:99]
	v_add_f64_e32 v[58:59], v[100:101], v[102:103]
	v_add_f64_e64 v[60:61], v[68:69], -v[66:67]
	v_add_f64_e64 v[62:63], v[100:101], -v[102:103]
	v_dual_add_f64 v[64:65], v[68:69], v[66:67] :: v_dual_lshlrev_b32 v66, 8, v0
	v_dual_lshlrev_b32 v0, 4, v94 :: v_dual_lshlrev_b32 v94, 17, v94
	ds_store_b128 v66, v[30:33]
	ds_store_b128 v66, v[46:49] offset:16
	ds_store_b128 v66, v[26:29] offset:128
	;; [unrolled: 1-line block ×15, first 2 shown]
	s_wait_dscnt 0x0
	s_barrier_signal -1
	s_barrier_wait -1
	s_clause 0x3
	global_load_b128 v[22:25], v1, s[8:9]
	global_load_b128 v[26:29], v1, s[8:9] offset:16
	global_load_b128 v[34:37], v1, s[8:9] offset:32
	global_load_b128 v[30:33], v1, s[8:9] offset:48
	s_wait_xcnt 0x0
	s_get_pc_i64 s[8:9]
	s_add_nc_u64 s[8:9], s[8:9], _ZL2D3@rel64+132
	s_clause 0x7
	global_load_b128 v[42:45], v1, s[8:9]
	global_load_b128 v[38:41], v1, s[8:9] offset:16
	global_load_b128 v[66:69], v1, s[12:13]
	global_load_b128 v[62:65], v1, s[12:13] offset:16
	global_load_b128 v[58:61], v1, s[12:13] offset:32
	;; [unrolled: 1-line block ×5, first 2 shown]
	s_wait_xcnt 0x0
	s_get_pc_i64 s[8:9]
	s_add_nc_u64 s[8:9], s[8:9], _ZL2D3@rel64+4
	s_clause 0x3
	global_load_b128 v[14:17], v1, s[8:9]
	global_load_b128 v[10:13], v1, s[8:9] offset:16
	global_load_b128 v[6:9], v1, s[8:9] offset:32
	global_load_b128 v[2:5], v1, s[8:9] offset:48
	v_lshl_or_b32 v110, v95, 12, v0
	ds_load_b128 v[74:77], v110 offset:256
	ds_load_b128 v[78:81], v110 offset:2304
	;; [unrolled: 1-line block ×7, first 2 shown]
	v_lshlrev_b32_e32 v95, 1, v95
	s_wait_xcnt 0x0
	s_lshl_b32 s8, s10, 3
	s_wait_loadcnt_dscnt 0xf06
	v_mul_f64_e32 v[72:73], v[76:77], v[24:25]
	v_mul_f64_e32 v[0:1], v[74:75], v[24:25]
	s_wait_loadcnt_dscnt 0xe05
	v_mul_f64_e32 v[100:101], v[80:81], v[28:29]
	s_wait_loadcnt_dscnt 0xd04
	v_mul_f64_e32 v[102:103], v[84:85], v[36:37]
	v_mul_f64_e32 v[36:37], v[82:83], v[36:37]
	;; [unrolled: 1-line block ×3, first 2 shown]
	s_wait_loadcnt_dscnt 0xc03
	v_mul_f64_e32 v[104:105], v[88:89], v[32:33]
	s_wait_loadcnt_dscnt 0xb01
	v_mul_f64_e32 v[106:107], v[92:93], v[44:45]
	v_mul_f64_e32 v[44:45], v[90:91], v[44:45]
	v_fma_f64 v[74:75], v[74:75], v[22:23], -v[72:73]
	v_mul_f64_e32 v[72:73], v[86:87], v[32:33]
	v_fmac_f64_e32 v[0:1], v[76:77], v[22:23]
	v_fma_f64 v[76:77], v[78:79], v[26:27], -v[100:101]
	v_fma_f64 v[78:79], v[82:83], v[34:35], -v[102:103]
	v_fmac_f64_e32 v[36:37], v[84:85], v[34:35]
	s_wait_loadcnt_dscnt 0xa00
	v_mul_f64_e32 v[82:83], v[98:99], v[40:41]
	v_mul_f64_e32 v[34:35], v[96:97], v[40:41]
	v_fmac_f64_e32 v[70:71], v[80:81], v[26:27]
	ds_load_b128 v[26:29], v110 offset:768
	ds_load_b128 v[100:103], v110 offset:2816
	v_fma_f64 v[80:81], v[86:87], v[30:31], -v[104:105]
	v_fma_f64 v[40:41], v[90:91], v[42:43], -v[106:107]
	v_fmac_f64_e32 v[44:45], v[92:93], v[42:43]
	ds_load_b128 v[90:93], v110 offset:1536
	ds_load_b128 v[22:25], v110 offset:3072
	v_fmac_f64_e32 v[72:73], v[88:89], v[30:31]
	ds_load_b128 v[30:33], v110 offset:1792
	s_wait_loadcnt_dscnt 0x904
	v_mul_f64_e32 v[84:85], v[28:29], v[68:69]
	v_mul_f64_e32 v[68:69], v[26:27], v[68:69]
	ds_load_b128 v[86:89], v110 offset:3840
	v_fma_f64 v[42:43], v[96:97], v[38:39], -v[82:83]
	v_fmac_f64_e32 v[34:35], v[98:99], v[38:39]
	ds_load_b128 v[96:99], v110 offset:3584
	s_wait_loadcnt_dscnt 0x805
	v_mul_f64_e32 v[104:105], v[102:103], v[64:65]
	v_mul_f64_e32 v[64:65], v[100:101], v[64:65]
	s_wait_loadcnt_dscnt 0x702
	v_mul_f64_e32 v[106:107], v[32:33], v[60:61]
	v_mul_f64_e32 v[82:83], v[30:31], v[60:61]
	s_wait_loadcnt_dscnt 0x601
	v_mul_f64_e32 v[108:109], v[88:89], v[56:57]
	v_fma_f64 v[38:39], v[26:27], v[66:67], -v[84:85]
	v_fmac_f64_e32 v[68:69], v[28:29], v[66:67]
	v_mul_f64_e32 v[66:67], v[86:87], v[56:57]
	ds_load_b128 v[26:29], v110
	s_wait_loadcnt 0x5
	v_mul_f64_e32 v[60:61], v[90:91], v[52:53]
	v_fma_f64 v[56:57], v[100:101], v[62:63], -v[104:105]
	v_mul_f64_e32 v[100:101], v[92:93], v[52:53]
	v_fmac_f64_e32 v[64:65], v[102:103], v[62:63]
	s_wait_loadcnt_dscnt 0x401
	v_mul_f64_e32 v[102:103], v[98:99], v[48:49]
	v_fma_f64 v[52:53], v[30:31], v[58:59], -v[106:107]
	v_fmac_f64_e32 v[82:83], v[32:33], v[58:59]
	v_mul_f64_e32 v[58:59], v[96:97], v[48:49]
	ds_load_b128 v[30:33], v110 offset:2048
	s_wait_loadcnt_dscnt 0x301
	v_mul_f64_e32 v[84:85], v[28:29], v[16:17]
	v_fma_f64 v[62:63], v[86:87], v[54:55], -v[108:109]
	v_mul_f64_e32 v[16:17], v[26:27], v[16:17]
	s_wait_loadcnt 0x1
	v_mul_f64_e32 v[48:49], v[18:19], v[8:9]
	v_fmac_f64_e32 v[66:67], v[88:89], v[54:55]
	v_mul_f64_e32 v[88:89], v[20:21], v[8:9]
	v_fmac_f64_e32 v[60:61], v[92:93], v[50:51]
	v_fma_f64 v[54:55], v[90:91], v[50:51], -v[100:101]
	s_wait_loadcnt 0x0
	v_mul_f64_e32 v[90:91], v[24:25], v[4:5]
	v_mul_f64_e32 v[50:51], v[22:23], v[4:5]
	s_wait_dscnt 0x0
	v_mul_f64_e32 v[86:87], v[32:33], v[12:13]
	v_mul_f64_e32 v[12:13], v[30:31], v[12:13]
	v_add3_u32 v4, v94, s8, v95
	v_add_f64_e64 v[94:95], v[38:39], -v[56:57]
	v_add_f64_e32 v[38:39], v[38:39], v[56:57]
	s_delay_alu instid0(VALU_DEP_3)
	v_ashrrev_i32_e32 v5, 31, v4
	v_fmac_f64_e32 v[58:59], v[98:99], v[46:47]
	v_fma_f64 v[46:47], v[96:97], v[46:47], -v[102:103]
	v_fma_f64 v[26:27], v[26:27], v[14:15], -v[84:85]
	v_add_f64_e64 v[84:85], v[68:69], -v[64:65]
	v_fmac_f64_e32 v[16:17], v[28:29], v[14:15]
	v_fmac_f64_e32 v[48:49], v[20:21], v[6:7]
	v_add_f64_e64 v[20:21], v[78:79], -v[80:81]
	v_add_f64_e32 v[64:65], v[68:69], v[64:65]
	v_add_f64_e32 v[68:69], v[74:75], v[76:77]
	v_add_f64_e64 v[98:99], v[44:45], -v[34:35]
	v_add_f64_e32 v[34:35], v[44:45], v[34:35]
	v_lshl_add_u64 v[4:5], v[4:5], 3, s[2:3]
	v_add_f64_e64 v[96:97], v[82:83], -v[66:67]
	v_add_f64_e32 v[66:67], v[82:83], v[66:67]
	s_delay_alu instid0(VALU_DEP_3) | instskip(NEXT) | instid1(VALU_DEP_1)
	v_add_co_u32 v8, vcc_lo, 0x8000000, v4
	v_add_co_ci_u32_e64 v9, null, 0, v5, vcc_lo
	v_fma_f64 v[22:23], v[22:23], v[2:3], -v[90:91]
	v_fma_f64 v[28:29], v[30:31], v[10:11], -v[86:87]
	v_fmac_f64_e32 v[12:13], v[32:33], v[10:11]
	v_fma_f64 v[30:31], v[18:19], v[6:7], -v[88:89]
	v_fmac_f64_e32 v[50:51], v[24:25], v[2:3]
	v_add_f64_e64 v[18:19], v[0:1], -v[70:71]
	v_add_f64_e64 v[24:25], v[74:75], -v[76:77]
	;; [unrolled: 1-line block ×5, first 2 shown]
	v_add_f64_e32 v[74:75], v[78:79], v[80:81]
	v_add_f64_e32 v[36:37], v[36:37], v[72:73]
	v_add_f64_e64 v[90:91], v[60:61], -v[58:59]
	v_add_f64_e64 v[100:101], v[54:55], -v[46:47]
	v_add_f64_e32 v[70:71], v[0:1], v[70:71]
	v_add_f64_e32 v[40:41], v[40:41], v[42:43]
	;; [unrolled: 1-line block ×5, first 2 shown]
	v_add_co_u32 v92, vcc_lo, 0x4000000, v4
	s_delay_alu instid0(VALU_DEP_1)
	v_add_co_ci_u32_e64 v93, null, 0, v5, vcc_lo
	v_add_co_u32 v2, vcc_lo, 0xc000000, v4
	v_add_f64_e32 v[108:109], v[94:95], v[96:97]
	v_add_f64_e64 v[52:53], v[64:65], -v[66:67]
	v_add_f64_e32 v[64:65], v[64:65], v[66:67]
	v_add_co_ci_u32_e64 v3, null, 0, v5, vcc_lo
	v_add_co_u32 v6, vcc_lo, 0x1000000, v4
	s_delay_alu instid0(VALU_DEP_1)
	v_add_co_ci_u32_e64 v7, null, 0, v5, vcc_lo
	v_add_f64_e32 v[76:77], v[26:27], v[28:29]
	v_add_f64_e32 v[80:81], v[30:31], v[22:23]
	;; [unrolled: 1-line block ×3, first 2 shown]
	v_add_f64_e64 v[72:73], v[18:19], -v[20:21]
	v_add_f64_e32 v[20:21], v[18:19], v[20:21]
	v_add_f64_e32 v[102:103], v[24:25], v[32:33]
	v_add_f64_e64 v[104:105], v[84:85], -v[86:87]
	v_add_f64_e64 v[24:25], v[24:25], -v[32:33]
	;; [unrolled: 1-line block ×3, first 2 shown]
	v_add_f64_e32 v[56:57], v[84:85], v[86:87]
	v_add_f64_e32 v[106:107], v[88:89], v[90:91]
	;; [unrolled: 1-line block ×4, first 2 shown]
	v_add_f64_e64 v[26:27], v[26:27], -v[28:29]
	v_add_f64_e64 v[28:29], v[48:49], -v[50:51]
	;; [unrolled: 1-line block ×5, first 2 shown]
	v_add_f64_e32 v[68:69], v[68:69], v[74:75]
	v_add_f64_e32 v[74:75], v[70:71], v[36:37]
	v_add_f64_e64 v[36:37], v[70:71], -v[36:37]
	v_add_f64_e64 v[70:71], v[38:39], -v[46:47]
	;; [unrolled: 1-line block ×3, first 2 shown]
	v_mul_f64_e32 v[84:85], 0x3fed906bcf328d46, v[108:109]
	v_mul_f64_e32 v[52:53], 0x3fe6a09e667f3bcd, v[52:53]
	v_add_f64_e64 v[90:91], v[94:95], -v[96:97]
	v_add_f64_e32 v[86:87], v[40:41], v[42:43]
	v_add_f64_e32 v[98:99], v[34:35], v[44:45]
	;; [unrolled: 1-line block ×3, first 2 shown]
	v_add_f64_e64 v[34:35], v[34:35], -v[44:45]
	v_add_f64_e64 v[40:41], v[40:41], -v[42:43]
	v_add_co_u32 v10, vcc_lo, 0x9000000, v4
	v_add_f64_e32 v[22:23], v[76:77], v[80:81]
	v_add_f64_e64 v[46:47], v[76:77], -v[80:81]
	v_mul_f64_e32 v[50:51], 0x3fd87de2a6aea963, v[72:73]
	v_mul_f64_e32 v[100:101], 0x3fed906bcf328d46, v[20:21]
	;; [unrolled: 1-line block ×10, first 2 shown]
	v_add_f64_e32 v[30:31], v[78:79], v[82:83]
	v_add_f64_e64 v[66:67], v[78:79], -v[82:83]
	v_add_f64_e32 v[76:77], v[26:27], v[28:29]
	v_add_f64_e64 v[78:79], v[12:13], -v[16:17]
	;; [unrolled: 2-line block ×4, first 2 shown]
	v_add_co_ci_u32_e64 v11, null, 0, v5, vcc_lo
	v_add_co_u32 v14, vcc_lo, 0x5000000, v4
	v_fmamk_f64 v[16:17], v[70:71], 0xbfe6a09e667f3bcd, v[52:53]
	v_fmac_f64_e32 v[52:53], 0x3fe6a09e667f3bcd, v[70:71]
	v_add_co_ci_u32_e64 v15, null, 0, v5, vcc_lo
	v_add_f64_e64 v[74:75], v[68:69], -v[38:39]
	v_add_co_u32 v0, vcc_lo, 0xd000000, v4
	s_delay_alu instid0(VALU_DEP_1)
	v_add_co_ci_u32_e64 v1, null, 0, v5, vcc_lo
	v_add_f64_e32 v[70:71], v[22:23], v[86:87]
	v_fmac_f64_e32 v[50:51], 0x3fed906bcf328d46, v[102:103]
	v_fmac_f64_e32 v[100:101], 0x3fd87de2a6aea963, v[24:25]
	v_fma_f64 v[42:43], v[72:73], s[0:1], -v[58:59]
	v_fmac_f64_e32 v[60:61], 0x3fd87de2a6aea963, v[108:109]
	v_fma_f64 v[58:59], v[104:105], s[4:5], -v[84:85]
	v_fma_f64 v[24:25], v[36:37], s[6:7], -v[32:33]
	v_fma_f64 v[20:21], v[20:21], s[4:5], -v[94:95]
	v_fma_f64 v[44:45], v[48:49], s[6:7], -v[62:63]
	v_fmamk_f64 v[28:29], v[88:89], 0xbfe6a09e667f3bcd, v[54:55]
	v_fmac_f64_e32 v[54:55], 0x3fe6a09e667f3bcd, v[88:89]
	v_fmac_f64_e32 v[96:97], 0x3fed906bcf328d46, v[90:91]
	v_fma_f64 v[56:57], v[90:91], s[4:5], -v[56:57]
	v_add_f64_e64 v[72:73], v[22:23], -v[86:87]
	v_fmamk_f64 v[22:23], v[36:37], 0x3fe6a09e667f3bcd, v[32:33]
	v_fmamk_f64 v[32:33], v[48:49], 0x3fe6a09e667f3bcd, v[62:63]
	v_add_f64_e32 v[80:81], v[30:31], v[98:99]
	v_add_f64_e64 v[30:31], v[30:31], -v[98:99]
	v_add_f64_e32 v[36:37], v[68:69], v[38:39]
	v_add_f64_e64 v[68:69], v[66:67], -v[40:41]
	v_add_f64_e32 v[62:63], v[66:67], v[40:41]
	v_add_f64_e32 v[40:41], v[22:23], v[16:17]
	;; [unrolled: 1-line block ×3, first 2 shown]
	v_add_f64_e64 v[16:17], v[22:23], -v[16:17]
	v_add_f64_e64 v[76:77], v[76:77], -v[32:33]
	v_add_f64_e32 v[38:39], v[46:47], v[34:35]
	v_add_f64_e64 v[48:49], v[46:47], -v[34:35]
	v_add_f64_e32 v[94:95], v[26:27], v[28:29]
	v_add_f64_e64 v[98:99], v[26:27], -v[28:29]
	v_add_co_u32 v18, vcc_lo, 0x2000000, v4
	s_delay_alu instid0(VALU_DEP_1) | instskip(SKIP_1) | instid1(VALU_DEP_1)
	v_add_co_ci_u32_e64 v19, null, 0, v5, vcc_lo
	v_add_co_u32 v106, vcc_lo, 0xa000000, v4
	v_add_co_ci_u32_e64 v107, null, 0, v5, vcc_lo
	v_add_f64_e32 v[88:89], v[50:51], v[60:61]
	v_add_f64_e32 v[90:91], v[42:43], v[58:59]
	v_add_f64_e64 v[42:43], v[42:43], -v[58:59]
	v_add_f64_e32 v[86:87], v[78:79], v[44:45]
	v_add_f64_e64 v[44:45], v[78:79], -v[44:45]
	v_add_f64_e64 v[78:79], v[50:51], -v[60:61]
	;; [unrolled: 1-line block ×3, first 2 shown]
	v_add_f64_e32 v[104:105], v[24:25], v[52:53]
	v_add_f64_e64 v[108:109], v[12:13], -v[54:55]
	v_add_f64_e64 v[110:111], v[100:101], -v[96:97]
	v_add_f64_e32 v[112:113], v[20:21], v[56:57]
	v_add_f64_e32 v[12:13], v[12:13], v[54:55]
	v_add_f64_e64 v[114:115], v[20:21], -v[56:57]
	v_add_f64_e32 v[96:97], v[100:101], v[96:97]
	v_add_f64_e64 v[22:23], v[30:31], -v[74:75]
	;; [unrolled: 2-line block ×3, first 2 shown]
	v_add_f64_e64 v[30:31], v[80:81], -v[82:83]
	v_add_f64_e32 v[32:33], v[70:71], v[36:37]
	v_add_f64_e32 v[34:35], v[80:81], v[82:83]
	;; [unrolled: 1-line block ×3, first 2 shown]
	v_add_f64_e64 v[24:25], v[72:73], -v[64:65]
	v_add_f64_e64 v[46:47], v[62:63], -v[16:17]
	v_add_f64_e32 v[50:51], v[62:63], v[16:17]
	v_add_f64_e32 v[36:37], v[38:39], v[40:41]
	v_add_f64_e64 v[40:41], v[38:39], -v[40:41]
	v_add_co_u32 v84, vcc_lo, 0x6000000, v4
	s_delay_alu instid0(VALU_DEP_1)
	v_add_co_ci_u32_e64 v85, null, 0, v5, vcc_lo
	v_add_co_u32 v100, vcc_lo, 0xe000000, v4
	v_add_f64_e32 v[52:53], v[66:67], v[88:89]
	v_add_f64_e64 v[56:57], v[66:67], -v[88:89]
	v_add_f64_e32 v[60:61], v[76:77], v[42:43]
	v_add_f64_e32 v[54:55], v[86:87], v[90:91]
	v_add_f64_e64 v[58:59], v[86:87], -v[90:91]
	v_add_f64_e64 v[62:63], v[44:45], -v[78:79]
	;; [unrolled: 1-line block ×3, first 2 shown]
	v_add_f64_e32 v[66:67], v[44:45], v[78:79]
	v_add_f64_e32 v[38:39], v[68:69], v[102:103]
	v_add_f64_e64 v[42:43], v[68:69], -v[102:103]
	v_add_f64_e32 v[44:45], v[48:49], v[104:105]
	v_add_f64_e64 v[48:49], v[48:49], -v[104:105]
	v_add_f64_e32 v[68:69], v[94:95], v[110:111]
	v_add_f64_e32 v[70:71], v[108:109], v[112:113]
	v_add_f64_e64 v[72:73], v[94:95], -v[110:111]
	v_add_f64_e64 v[74:75], v[108:109], -v[112:113]
	v_add_f64_e32 v[76:77], v[98:99], v[114:115]
	v_add_f64_e64 v[78:79], v[12:13], -v[96:97]
	v_add_f64_e64 v[80:81], v[98:99], -v[114:115]
	v_add_f64_e32 v[82:83], v[12:13], v[96:97]
	v_add_co_ci_u32_e64 v101, null, 0, v5, vcc_lo
	v_add_co_u32 v12, vcc_lo, 0x3000000, v4
	s_delay_alu instid0(VALU_DEP_1) | instskip(SKIP_1) | instid1(VALU_DEP_1)
	v_add_co_ci_u32_e64 v13, null, 0, v5, vcc_lo
	v_add_co_u32 v16, vcc_lo, 0xb000000, v4
	v_add_co_ci_u32_e64 v17, null, 0, v5, vcc_lo
	v_add_co_u32 v86, vcc_lo, 0x7000000, v4
	s_delay_alu instid0(VALU_DEP_1) | instskip(SKIP_1) | instid1(VALU_DEP_1)
	v_add_co_ci_u32_e64 v87, null, 0, v5, vcc_lo
	v_add_co_u32 v88, vcc_lo, 0xf000000, v4
	v_add_co_ci_u32_e64 v89, null, 0, v5, vcc_lo
	s_clause 0xf
	global_store_b128 v[8:9], v[28:31], off
	global_store_b128 v[4:5], v[32:35], off
	;; [unrolled: 1-line block ×16, first 2 shown]
	s_wait_storecnt 0x0
	s_barrier_signal -1
	s_barrier_wait -1
	s_endpgm
	.section	.rodata,"a",@progbits
	.p2align	6, 0x0
	.amdhsa_kernel _Z30ker_zmddft_fwd_256x256x256_cu2PKdPd
		.amdhsa_group_segment_fixed_size 16384
		.amdhsa_private_segment_fixed_size 0
		.amdhsa_kernarg_size 16
		.amdhsa_user_sgpr_count 2
		.amdhsa_user_sgpr_dispatch_ptr 0
		.amdhsa_user_sgpr_queue_ptr 0
		.amdhsa_user_sgpr_kernarg_segment_ptr 1
		.amdhsa_user_sgpr_dispatch_id 0
		.amdhsa_user_sgpr_kernarg_preload_length 0
		.amdhsa_user_sgpr_kernarg_preload_offset 0
		.amdhsa_user_sgpr_private_segment_size 0
		.amdhsa_wavefront_size32 1
		.amdhsa_uses_dynamic_stack 0
		.amdhsa_enable_private_segment 0
		.amdhsa_system_sgpr_workgroup_id_x 1
		.amdhsa_system_sgpr_workgroup_id_y 0
		.amdhsa_system_sgpr_workgroup_id_z 0
		.amdhsa_system_sgpr_workgroup_info 0
		.amdhsa_system_vgpr_workitem_id 0
		.amdhsa_next_free_vgpr 116
		.amdhsa_next_free_sgpr 14
		.amdhsa_named_barrier_count 0
		.amdhsa_reserve_vcc 1
		.amdhsa_float_round_mode_32 0
		.amdhsa_float_round_mode_16_64 0
		.amdhsa_float_denorm_mode_32 3
		.amdhsa_float_denorm_mode_16_64 3
		.amdhsa_fp16_overflow 0
		.amdhsa_memory_ordered 1
		.amdhsa_forward_progress 1
		.amdhsa_inst_pref_size 32
		.amdhsa_round_robin_scheduling 0
		.amdhsa_exception_fp_ieee_invalid_op 0
		.amdhsa_exception_fp_denorm_src 0
		.amdhsa_exception_fp_ieee_div_zero 0
		.amdhsa_exception_fp_ieee_overflow 0
		.amdhsa_exception_fp_ieee_underflow 0
		.amdhsa_exception_fp_ieee_inexact 0
		.amdhsa_exception_int_div_zero 0
	.end_amdhsa_kernel
	.text
.Lfunc_end2:
	.size	_Z30ker_zmddft_fwd_256x256x256_cu2PKdPd, .Lfunc_end2-_Z30ker_zmddft_fwd_256x256x256_cu2PKdPd
                                        ; -- End function
	.set _Z30ker_zmddft_fwd_256x256x256_cu2PKdPd.num_vgpr, 116
	.set _Z30ker_zmddft_fwd_256x256x256_cu2PKdPd.num_agpr, 0
	.set _Z30ker_zmddft_fwd_256x256x256_cu2PKdPd.numbered_sgpr, 14
	.set _Z30ker_zmddft_fwd_256x256x256_cu2PKdPd.num_named_barrier, 0
	.set _Z30ker_zmddft_fwd_256x256x256_cu2PKdPd.private_seg_size, 0
	.set _Z30ker_zmddft_fwd_256x256x256_cu2PKdPd.uses_vcc, 1
	.set _Z30ker_zmddft_fwd_256x256x256_cu2PKdPd.uses_flat_scratch, 0
	.set _Z30ker_zmddft_fwd_256x256x256_cu2PKdPd.has_dyn_sized_stack, 0
	.set _Z30ker_zmddft_fwd_256x256x256_cu2PKdPd.has_recursion, 0
	.set _Z30ker_zmddft_fwd_256x256x256_cu2PKdPd.has_indirect_call, 0
	.section	.AMDGPU.csdata,"",@progbits
; Kernel info:
; codeLenInByte = 4064
; TotalNumSgprs: 16
; NumVgprs: 116
; ScratchSize: 0
; MemoryBound: 0
; FloatMode: 240
; IeeeMode: 1
; LDSByteSize: 16384 bytes/workgroup (compile time only)
; SGPRBlocks: 0
; VGPRBlocks: 7
; NumSGPRsForWavesPerEU: 16
; NumVGPRsForWavesPerEU: 116
; NamedBarCnt: 0
; Occupancy: 8
; WaveLimiterHint : 1
; COMPUTE_PGM_RSRC2:SCRATCH_EN: 0
; COMPUTE_PGM_RSRC2:USER_SGPR: 2
; COMPUTE_PGM_RSRC2:TRAP_HANDLER: 0
; COMPUTE_PGM_RSRC2:TGID_X_EN: 1
; COMPUTE_PGM_RSRC2:TGID_Y_EN: 0
; COMPUTE_PGM_RSRC2:TGID_Z_EN: 0
; COMPUTE_PGM_RSRC2:TIDIG_COMP_CNT: 0
	.text
	.p2alignl 7, 3214868480
	.fill 96, 4, 3214868480
	.section	.AMDGPU.gpr_maximums,"",@progbits
	.set amdgpu.max_num_vgpr, 0
	.set amdgpu.max_num_agpr, 0
	.set amdgpu.max_num_sgpr, 0
	.text
	.type	_ZL2D3,@object                  ; @_ZL2D3
	.section	.rodata,"a",@progbits
	.p2align	4, 0x0
_ZL2D3:
	.quad	0x3ff0000000000000              ; double 1
	.quad	0x0000000000000000              ; double 0
	;; [unrolled: 1-line block ×34, first 2 shown]
	.quad	0x3fef6297cff75cb0              ; double 0.98078528040323043
	.quad	0xbfc8f8b83c69a60a              ; double -0.19509032201612825
	.quad	0x3fefd88da3d12526              ; double 0.99518472667219693
	.quad	0xbfb917a6bc29b42c              ; double -0.098017140329560603
	.quad	0x3fee9f4156c62dda              ; double 0.95694033573220882
	.quad	0xbfd294062ed59f05              ; double -0.29028467725446233
	.quad	0x3feffd886084cd0d              ; double 0.99969881869620424
	.quad	0xbf992155f7a3667e              ; double -0.024541228522912288
	.quad	0x3fef38f3ac64e589              ; double 0.97570213003852857
	.quad	0xbfcc0b826a7e4f63              ; double -0.2191012401568698
	.quad	0x3fefc26470e19fd3              ; double 0.99247953459870996
	.quad	0xbfbf564e56a9730e              ; double -0.1224106751992162
	.quad	0x3fee6288ec48e112              ; double 0.94952818059303667
	.quad	0xbfd4135c94176602              ; double -0.31368174039889152
	.quad	0x3feff621e3796d7e              ; double 0.99879545620517241
	.quad	0xbfa91f65f10dd814              ; double -0.049067674327418015
	.quad	0x3fef0a7efb9230d7              ; double 0.97003125319454397
	.quad	0xbfcf19f97b215f1a              ; double -0.24298017990326387
	.quad	0x3fefa7557f08a517              ; double 0.98917650996478101
	.quad	0xbfc2c8106e8e613a              ; double -0.14673047445536175
	.quad	0x3fee212104f686e5              ; double 0.94154406518302081
	.quad	0xbfd58f9a75ab1fdd              ; double -0.33688985339222005
	.quad	0x3fefe9cdad01883a              ; double 0.99729045667869021
	.quad	0xbfb2d52092ce19f6              ; double -0.073564563599667426
	.quad	0x3feed740e7684963              ; double 0.96377606579543984
	.quad	0xbfd111d262b1f677              ; double -0.26671275747489837
	.quad	0x3fef8764fa714ba9              ; double 0.98527764238894122
	.quad	0xbfc5e214448b3fc6              ; double -0.17096188876030122
	.quad	0x3feddb13b6ccc23d              ; double 0.93299279883473896
	.quad	0xbfd7088530fa459e              ; double -0.35989503653498811
	.quad	0x3ff0000000000000              ; double 1
	.quad	0x0000000000000000              ; double 0
	.quad	0x3fed906bcf328d46              ; double 0.92387953251128674
	.quad	0xbfd87de2a6aea963              ; double -0.38268343236508978
	.quad	0x3fef6297cff75cb0              ; double 0.98078528040323043
	.quad	0xbfc8f8b83c69a60a              ; double -0.19509032201612825
	.quad	0x3fea9b66290ea1a3              ; double 0.83146961230254524
	.quad	0xbfe1c73b39ae68c8              ; double -0.55557023301960218
	.quad	0x3feff621e3796d7e              ; double 0.99879545620517241
	.quad	0xbfa91f65f10dd814              ; double -0.049067674327418015
	.quad	0x3feced7af43cc773              ; double 0.90398929312344334
	.quad	0xbfdb5d1009e15cc0              ; double -0.42755509343028208
	.quad	0x3fef0a7efb9230d7              ; double 0.97003125319454397
	.quad	0xbfcf19f97b215f1a              ; double -0.24298017990326387
	.quad	0x3fe9b3e047f38741              ; double 0.80320753148064494
	.quad	0xbfe30ff7fce17035              ; double -0.59569930449243336
	.quad	0x3fefd88da3d12526              ; double 0.99518472667219693
	.quad	0xbfb917a6bc29b42c              ; double -0.098017140329560603
	.quad	0x3fec38b2f180bdb1              ; double 0.88192126434835505
	.quad	0xbfde2b5d3806f63b              ; double -0.47139673682599764
	.quad	0x3fee9f4156c62dda              ; double 0.95694033573220882
	.quad	0xbfd294062ed59f05              ; double -0.29028467725446233
	.quad	0x3fe8bc806b151741              ; double 0.77301045336273699
	.quad	0xbfe44cf325091dd6              ; double -0.63439328416364549
	.quad	0x3fefa7557f08a517              ; double 0.98917650996478101
	.quad	0xbfc2c8106e8e613a              ; double -0.14673047445536175
	.quad	0x3feb728345196e3e              ; double 0.85772861000027212
	.quad	0xbfe073879922ffed              ; double -0.51410274419322166
	.quad	0x3fee212104f686e5              ; double 0.94154406518302081
	.quad	0xbfd58f9a75ab1fdd              ; double -0.33688985339222005
	.quad	0x3fe7b5df226aafb0              ; double 0.74095112535495922
	.quad	0xbfe57d69348cec9f              ; double -0.67155895484701833
	.quad	0x3ff0000000000000              ; double 1
	.quad	0x0000000000000000              ; double 0
	;; [unrolled: 32-line block ×4, first 2 shown]
	.quad	0x3fe1c73b39ae68c8              ; double 0.55557023301960218
	.quad	0xbfea9b66290ea1a3              ; double -0.83146961230254524
	.quad	0x3fec38b2f180bdb1              ; double 0.88192126434835505
	.quad	0xbfde2b5d3806f63b              ; double -0.47139673682599764
	.quad	0x3fb917a6bc29b42c              ; double 0.098017140329560603
	.quad	0xbfefd88da3d12526              ; double -0.99518472667219693
	.quad	0x3fefc26470e19fd3              ; double 0.99247953459870996
	.quad	0xbfbf564e56a9730e              ; double -0.1224106751992162
	.quad	0x3fdcc66e9931c45d              ; double 0.44961132965460654
	.quad	0xbfec954b213411f5              ; double -0.89322430119551532
	.quad	0x3fea29a7a0462782              ; double 0.81758481315158371
	.quad	0xbfe26d054cdd12df              ; double -0.57580819141784534
	.quad	0xbf992155f7a3667e              ; double -0.024541228522912288
	.quad	0xbfeffd886084cd0d              ; double -0.99969881869620424
	.quad	0x3fef0a7efb9230d7              ; double 0.97003125319454397
	.quad	0xbfcf19f97b215f1a              ; double -0.24298017990326387
	.quad	0x3fd58f9a75ab1fdd              ; double 0.33688985339222005
	;; [unrolled: 2-line block ×3, first 2 shown]
	.quad	0xbfe57d69348cec9f              ; double -0.67155895484701833
	.quad	0xbfc2c8106e8e613a              ; double -0.14673047445536175
	.quad	0xbfefa7557f08a517              ; double -0.98917650996478101
	.quad	0x3feddb13b6ccc23d              ; double 0.93299279883473896
	.quad	0xbfd7088530fa459e              ; double -0.35989503653498811
	.quad	0x3fcc0b826a7e4f63              ; double 0.2191012401568698
	.quad	0xbfef38f3ac64e589              ; double -0.97570213003852857
	;; [unrolled: 2-line block ×3, first 2 shown]
	.quad	0xbfd111d262b1f677              ; double -0.26671275747489837
	.quad	0xbfeed740e7684963              ; double -0.96377606579543984
	.quad	0x3ff0000000000000              ; double 1
	.quad	0x0000000000000000              ; double 0
	.quad	0x3fd87de2a6aea963              ; double 0.38268343236508978
	.quad	0xbfed906bcf328d46              ; double -0.92387953251128674
	.quad	0x3fea9b66290ea1a3              ; double 0.83146961230254524
	.quad	0xbfe1c73b39ae68c8              ; double -0.55557023301960218
	.quad	0xbfc8f8b83c69a60a              ; double -0.19509032201612825
	.quad	0xbfef6297cff75cb0              ; double -0.98078528040323043
	.quad	0x3fefa7557f08a517              ; double 0.98917650996478101
	.quad	0xbfc2c8106e8e613a              ; double -0.14673047445536175
	.quad	0x3fcf19f97b215f1a              ; double 0.24298017990326387
	.quad	0xbfef0a7efb9230d7              ; double -0.97003125319454397
	.quad	0x3fe7b5df226aafb0              ; double 0.74095112535495922
	.quad	0xbfe57d69348cec9f              ; double -0.67155895484701833
	.quad	0xbfd58f9a75ab1fdd              ; double -0.33688985339222005
	.quad	0xbfee212104f686e5              ; double -0.94154406518302081
	.quad	0x3fee9f4156c62dda              ; double 0.95694033573220882
	.quad	0xbfd294062ed59f05              ; double -0.29028467725446233
	;; [unrolled: 8-line block ×3, first 2 shown]
	.quad	0xbfa91f65f10dd814              ; double -0.049067674327418015
	.quad	0xbfeff621e3796d7e              ; double -0.99879545620517241
	.quad	0x3fe073879922ffed              ; double 0.51410274419322166
	.quad	0xbfeb728345196e3e              ; double -0.85772861000027212
	.quad	0xbfe30ff7fce17035              ; double -0.59569930449243336
	;; [unrolled: 1-line block ×3, first 2 shown]
	.quad	0x3ff0000000000000              ; double 1
	.quad	0x0000000000000000              ; double 0
	.quad	0x3fc8f8b83c69a60a              ; double 0.19509032201612825
	.quad	0xbfef6297cff75cb0              ; double -0.98078528040323043
	.quad	0x3fe8bc806b151741              ; double 0.77301045336273699
	.quad	0xbfe44cf325091dd6              ; double -0.63439328416364549
	.quad	0xbfde2b5d3806f63b              ; double -0.47139673682599764
	;; [unrolled: 1-line block ×3, first 2 shown]
	.quad	0x3fef8764fa714ba9              ; double 0.98527764238894122
	.quad	0xbfc5e214448b3fc6              ; double -0.17096188876030122
	.quad	0x3f992155f7a3667e              ; double 0.024541228522912288
	.quad	0xbfeffd886084cd0d              ; double -0.99969881869620424
	;; [unrolled: 2-line block ×3, first 2 shown]
	.quad	0xbfe3affa292050b9              ; double -0.61523159058062682
	.quad	0xbfe93a22499263fb              ; double -0.78834642762660623
	.quad	0x3fee212104f686e5              ; double 0.94154406518302081
	.quad	0xbfd58f9a75ab1fdd              ; double -0.33688985339222005
	.quad	0xbfc2c8106e8e613a              ; double -0.14673047445536175
	.quad	0xbfefa7557f08a517              ; double -0.98917650996478101
	.quad	0x3fe073879922ffed              ; double 0.51410274419322166
	.quad	0xbfeb728345196e3e              ; double -0.85772861000027212
	;; [unrolled: 4-line block ×4, first 2 shown]
	.quad	0xbfeb090a58150200              ; double -0.84485356524970712
	.quad	0xbfe11eb3541b4b22              ; double -0.53499761988709715
	.quad	0x3ff0000000000000              ; double 1
	.quad	0x0000000000000000              ; double 0
	;; [unrolled: 1-line block ×3, first 2 shown]
	.quad	0xbff0000000000000              ; double -1
	.quad	0x3fe6a09e667f3bcd              ; double 0.70710678118654757
	.quad	0xbfe6a09e667f3bcd              ; double -0.70710678118654757
	.quad	0xbfe6a09e667f3bcd              ; double -0.70710678118654757
	.quad	0xbfe6a09e667f3bcd              ; double -0.70710678118654757
	.quad	0x3fef6297cff75cb0              ; double 0.98078528040323043
	.quad	0xbfc8f8b83c69a60a              ; double -0.19509032201612825
	.quad	0xbfc8f8b83c69a60a              ; double -0.19509032201612825
	.quad	0xbfef6297cff75cb0              ; double -0.98078528040323043
	;; [unrolled: 4-line block ×7, first 2 shown]
	.quad	0x3ff0000000000000              ; double 1
	.quad	0x0000000000000000              ; double 0
	.quad	0xbfc8f8b83c69a60a              ; double -0.19509032201612825
	.quad	0xbfef6297cff75cb0              ; double -0.98078528040323043
	.quad	0x3fe44cf325091dd6              ; double 0.63439328416364549
	.quad	0xbfe8bc806b151741              ; double -0.77301045336273699
	.quad	0xbfec38b2f180bdb1              ; double -0.88192126434835505
	.quad	0xbfde2b5d3806f63b              ; double -0.47139673682599764
	.quad	0x3fef38f3ac64e589              ; double 0.97570213003852857
	.quad	0xbfcc0b826a7e4f63              ; double -0.2191012401568698
	;; [unrolled: 4-line block ×7, first 2 shown]
	.quad	0xbfef8764fa714ba9              ; double -0.98527764238894122
	.quad	0x3fc5e214448b3fc6              ; double 0.17096188876030122
	.quad	0x3ff0000000000000              ; double 1
	.quad	0x0000000000000000              ; double 0
	.quad	0xbfd87de2a6aea963              ; double -0.38268343236508978
	.quad	0xbfed906bcf328d46              ; double -0.92387953251128674
	.quad	0x3fe1c73b39ae68c8              ; double 0.55557023301960218
	.quad	0xbfea9b66290ea1a3              ; double -0.83146961230254524
	.quad	0xbfef6297cff75cb0              ; double -0.98078528040323043
	.quad	0xbfc8f8b83c69a60a              ; double -0.19509032201612825
	.quad	0x3fef0a7efb9230d7              ; double 0.97003125319454397
	.quad	0xbfcf19f97b215f1a              ; double -0.24298017990326387
	;; [unrolled: 4-line block ×3, first 2 shown]
	.quad	0xbfeff621e3796d7e              ; double -0.99879545620517241
	.quad	0x3fa91f65f10dd814              ; double 0.049067674327418015
	.quad	0x3fec38b2f180bdb1              ; double 0.88192126434835505
	.quad	0xbfde2b5d3806f63b              ; double -0.47139673682599764
	.quad	0xbfe8bc806b151741              ; double -0.77301045336273699
	;; [unrolled: 1-line block ×3, first 2 shown]
	.quad	0x3fb917a6bc29b42c              ; double 0.098017140329560603
	.quad	0xbfefd88da3d12526              ; double -0.99518472667219693
	.quad	0xbfee9f4156c62dda              ; double -0.95694033573220882
	.quad	0x3fd294062ed59f05              ; double 0.29028467725446233
	.quad	0x3fe7b5df226aafb0              ; double 0.74095112535495922
	.quad	0xbfe57d69348cec9f              ; double -0.67155895484701833
	.quad	0xbfeced7af43cc773              ; double -0.90398929312344334
	;; [unrolled: 1-line block ×6, first 2 shown]
	.quad	0x3fe073879922ffed              ; double 0.51410274419322166
	.quad	0x3ff0000000000000              ; double 1
	.quad	0x0000000000000000              ; double 0
	.quad	0xbfe1c73b39ae68c8              ; double -0.55557023301960218
	.quad	0xbfea9b66290ea1a3              ; double -0.83146961230254524
	.quad	0x3fde2b5d3806f63b              ; double 0.47139673682599764
	.quad	0xbfec38b2f180bdb1              ; double -0.88192126434835505
	.quad	0xbfefd88da3d12526              ; double -0.99518472667219693
	.quad	0x3fb917a6bc29b42c              ; double 0.098017140329560603
	.quad	0x3feed740e7684963              ; double 0.96377606579543984
	.quad	0xbfd111d262b1f677              ; double -0.26671275747489837
	.quad	0xbfe83b0e0bff976e              ; double -0.75720884650648457
	;; [unrolled: 1-line block ×3, first 2 shown]
	.quad	0x3fcc0b826a7e4f63              ; double 0.2191012401568698
	.quad	0xbfef38f3ac64e589              ; double -0.97570213003852857
	.quad	0xbfeddb13b6ccc23d              ; double -0.93299279883473896
	.quad	0x3fd7088530fa459e              ; double 0.35989503653498811
	.quad	0x3feb728345196e3e              ; double 0.85772861000027212
	.quad	0xbfe073879922ffed              ; double -0.51410274419322166
	.quad	0xbfeced7af43cc773              ; double -0.90398929312344334
	;; [unrolled: 1-line block ×6, first 2 shown]
	.quad	0x3fe30ff7fce17035              ; double 0.59569930449243336
	.quad	0x3fe610b7551d2cde              ; double 0.68954054473706683
	.quad	0xbfe72d0837efff97              ; double -0.724247082951467
	.quad	0xbfef8764fa714ba9              ; double -0.98527764238894122
	;; [unrolled: 1-line block ×6, first 2 shown]
	.quad	0x3fe93a22499263fb              ; double 0.78834642762660623
	.quad	0x3ff0000000000000              ; double 1
	.quad	0x0000000000000000              ; double 0
	.quad	0xbfe6a09e667f3bcd              ; double -0.70710678118654757
	.quad	0xbfe6a09e667f3bcd              ; double -0.70710678118654757
	.quad	0x3fd87de2a6aea963              ; double 0.38268343236508978
	.quad	0xbfed906bcf328d46              ; double -0.92387953251128674
	.quad	0xbfed906bcf328d46              ; double -0.92387953251128674
	.quad	0x3fd87de2a6aea963              ; double 0.38268343236508978
	.quad	0x3fee9f4156c62dda              ; double 0.95694033573220882
	.quad	0xbfd294062ed59f05              ; double -0.29028467725446233
	.quad	0xbfec38b2f180bdb1              ; double -0.88192126434835505
	;; [unrolled: 1-line block ×3, first 2 shown]
	.quad	0x3fb917a6bc29b42c              ; double 0.098017140329560603
	.quad	0xbfefd88da3d12526              ; double -0.99518472667219693
	.quad	0xbfe8bc806b151741              ; double -0.77301045336273699
	.quad	0x3fe44cf325091dd6              ; double 0.63439328416364549
	.quad	0x3fea9b66290ea1a3              ; double 0.83146961230254524
	.quad	0xbfe1c73b39ae68c8              ; double -0.55557023301960218
	.quad	0xbfef6297cff75cb0              ; double -0.98078528040323043
	;; [unrolled: 1-line block ×6, first 2 shown]
	.quad	0x3fea9b66290ea1a3              ; double 0.83146961230254524
	.quad	0x3fe44cf325091dd6              ; double 0.63439328416364549
	.quad	0xbfe8bc806b151741              ; double -0.77301045336273699
	.quad	0xbfefd88da3d12526              ; double -0.99518472667219693
	.quad	0x3fb917a6bc29b42c              ; double 0.098017140329560603
	.quad	0xbfde2b5d3806f63b              ; double -0.47139673682599764
	.quad	0xbfec38b2f180bdb1              ; double -0.88192126434835505
	;; [unrolled: 1-line block ×3, first 2 shown]
	.quad	0x3fee9f4156c62dda              ; double 0.95694033573220882
	.quad	0x3ff0000000000000              ; double 1
	.quad	0x0000000000000000              ; double 0
	.quad	0xbfea9b66290ea1a3              ; double -0.83146961230254524
	.quad	0xbfe1c73b39ae68c8              ; double -0.55557023301960218
	.quad	0x3fd294062ed59f05              ; double 0.29028467725446233
	.quad	0xbfee9f4156c62dda              ; double -0.95694033573220882
	.quad	0xbfe8bc806b151741              ; double -0.77301045336273699
	.quad	0x3fe44cf325091dd6              ; double 0.63439328416364549
	.quad	0x3fee6288ec48e112              ; double 0.94952818059303667
	.quad	0xbfd4135c94176602              ; double -0.31368174039889152
	.quad	0xbfeed740e7684963              ; double -0.96377606579543984
	;; [unrolled: 1-line block ×6, first 2 shown]
	.quad	0x3feb090a58150200              ; double 0.84485356524970712
	.quad	0x3fe9b3e047f38741              ; double 0.80320753148064494
	.quad	0xbfe30ff7fce17035              ; double -0.59569930449243336
	.quad	0xbfeff621e3796d7e              ; double -0.99879545620517241
	.quad	0x3fa91f65f10dd814              ; double 0.049067674327418015
	.quad	0xbfd58f9a75ab1fdd              ; double -0.33688985339222005
	.quad	0xbfee212104f686e5              ; double -0.94154406518302081
	;; [unrolled: 1-line block ×3, first 2 shown]
	.quad	0x3fef0a7efb9230d7              ; double 0.97003125319454397
	.quad	0x3fe26d054cdd12df              ; double 0.57580819141784534
	.quad	0xbfea29a7a0462782              ; double -0.81758481315158371
	.quad	0xbfeddb13b6ccc23d              ; double -0.93299279883473896
	.quad	0x3fd7088530fa459e              ; double 0.35989503653498811
	.quad	0xbfe3affa292050b9              ; double -0.61523159058062682
	.quad	0xbfe93a22499263fb              ; double -0.78834642762660623
	.quad	0x3fb2d52092ce19f6              ; double 0.073564563599667426
	.quad	0x3fefe9cdad01883a              ; double 0.99729045667869021
	.quad	0x3ff0000000000000              ; double 1
	.quad	0x0000000000000000              ; double 0
	.quad	0xbfed906bcf328d46              ; double -0.92387953251128674
	.quad	0xbfd87de2a6aea963              ; double -0.38268343236508978
	.quad	0x3fc8f8b83c69a60a              ; double 0.19509032201612825
	.quad	0xbfef6297cff75cb0              ; double -0.98078528040323043
	.quad	0xbfe1c73b39ae68c8              ; double -0.55557023301960218
	.quad	0x3fea9b66290ea1a3              ; double 0.83146961230254524
	.quad	0x3fee212104f686e5              ; double 0.94154406518302081
	.quad	0xbfd58f9a75ab1fdd              ; double -0.33688985339222005
	.quad	0xbfeff621e3796d7e              ; double -0.99879545620517241
	;; [unrolled: 1-line block ×6, first 2 shown]
	.quad	0x3fef0a7efb9230d7              ; double 0.97003125319454397
	.quad	0x3fe8bc806b151741              ; double 0.77301045336273699
	.quad	0xbfe44cf325091dd6              ; double -0.63439328416364549
	.quad	0xbfee9f4156c62dda              ; double -0.95694033573220882
	.quad	0x3fd294062ed59f05              ; double 0.29028467725446233
	.quad	0xbfde2b5d3806f63b              ; double -0.47139673682599764
	.quad	0xbfec38b2f180bdb1              ; double -0.88192126434835505
	.quad	0x3fb917a6bc29b42c              ; double 0.098017140329560603
	.quad	0x3fefd88da3d12526              ; double 0.99518472667219693
	;; [unrolled: 1-line block ×3, first 2 shown]
	.quad	0xbfeb728345196e3e              ; double -0.85772861000027212
	.quad	0xbfe9b3e047f38741              ; double -0.80320753148064494
	.quad	0x3fe30ff7fce17035              ; double 0.59569930449243336
	.quad	0xbfe7b5df226aafb0              ; double -0.74095112535495922
	.quad	0xbfe57d69348cec9f              ; double -0.67155895484701833
	.quad	0x3fdb5d1009e15cc0              ; double 0.42755509343028208
	.quad	0x3feced7af43cc773              ; double 0.90398929312344334
	.quad	0x3ff0000000000000              ; double 1
	.quad	0x0000000000000000              ; double 0
	.quad	0xbfef6297cff75cb0              ; double -0.98078528040323043
	.quad	0xbfc8f8b83c69a60a              ; double -0.19509032201612825
	.quad	0x3fb917a6bc29b42c              ; double 0.098017140329560603
	.quad	0xbfefd88da3d12526              ; double -0.99518472667219693
	.quad	0xbfd294062ed59f05              ; double -0.29028467725446233
	.quad	0x3fee9f4156c62dda              ; double 0.95694033573220882
	.quad	0x3feddb13b6ccc23d              ; double 0.93299279883473896
	.quad	0xbfd7088530fa459e              ; double -0.35989503653498811
	.quad	0xbfef8764fa714ba9              ; double -0.98527764238894122
	.quad	0x3fc5e214448b3fc6              ; double 0.17096188876030122
	.quad	0xbfd111d262b1f677              ; double -0.26671275747489837
	.quad	0xbfeed740e7684963              ; double -0.96377606579543984
	.quad	0x3fb2d52092ce19f6              ; double 0.073564563599667426
	.quad	0x3fefe9cdad01883a              ; double 0.99729045667869021
	.quad	0x3fe7b5df226aafb0              ; double 0.74095112535495922
	.quad	0xbfe57d69348cec9f              ; double -0.67155895484701833
	.quad	0xbfeb728345196e3e              ; double -0.85772861000027212
	.quad	0x3fe073879922ffed              ; double 0.51410274419322166
	.quad	0xbfe30ff7fce17035              ; double -0.59569930449243336
	.quad	0xbfe9b3e047f38741              ; double -0.80320753148064494
	.quad	0x3fdb5d1009e15cc0              ; double 0.42755509343028208
	;; [unrolled: 8-line block ×3, first 2 shown]
	.quad	0x3fe610b7551d2cde              ; double 0.68954054473706683
	.size	_ZL2D3, 4096

	.type	__hip_cuid_d054253b53de7886,@object ; @__hip_cuid_d054253b53de7886
	.section	.bss,"aw",@nobits
	.globl	__hip_cuid_d054253b53de7886
__hip_cuid_d054253b53de7886:
	.byte	0                               ; 0x0
	.size	__hip_cuid_d054253b53de7886, 1

	.ident	"AMD clang version 22.0.0git (https://github.com/RadeonOpenCompute/llvm-project roc-7.2.4 26084 f58b06dce1f9c15707c5f808fd002e18c2accf7e)"
	.section	".note.GNU-stack","",@progbits
	.addrsig
	.addrsig_sym __hip_cuid_d054253b53de7886
	.amdgpu_metadata
---
amdhsa.kernels:
  - .args:
      - .address_space:  global
        .offset:         0
        .size:           8
        .value_kind:     global_buffer
      - .address_space:  global
        .offset:         8
        .size:           8
        .value_kind:     global_buffer
    .group_segment_fixed_size: 16384
    .kernarg_segment_align: 8
    .kernarg_segment_size: 16
    .language:       OpenCL C
    .language_version:
      - 2
      - 0
    .max_flat_workgroup_size: 1024
    .name:           _Z30ker_zmddft_fwd_256x256x256_cu0PKdPd
    .private_segment_fixed_size: 0
    .sgpr_count:     16
    .sgpr_spill_count: 0
    .symbol:         _Z30ker_zmddft_fwd_256x256x256_cu0PKdPd.kd
    .uniform_work_group_size: 1
    .uses_dynamic_stack: false
    .vgpr_count:     116
    .vgpr_spill_count: 0
    .wavefront_size: 32
  - .args:
      - .address_space:  global
        .offset:         0
        .size:           8
        .value_kind:     global_buffer
      - .address_space:  global
        .offset:         8
        .size:           8
        .value_kind:     global_buffer
    .group_segment_fixed_size: 16384
    .kernarg_segment_align: 8
    .kernarg_segment_size: 16
    .language:       OpenCL C
    .language_version:
      - 2
      - 0
    .max_flat_workgroup_size: 1024
    .name:           _Z30ker_zmddft_fwd_256x256x256_cu1PKdPd
    .private_segment_fixed_size: 0
    .sgpr_count:     16
    .sgpr_spill_count: 0
    .symbol:         _Z30ker_zmddft_fwd_256x256x256_cu1PKdPd.kd
    .uniform_work_group_size: 1
    .uses_dynamic_stack: false
    .vgpr_count:     116
    .vgpr_spill_count: 0
    .wavefront_size: 32
  - .args:
      - .address_space:  global
        .offset:         0
        .size:           8
        .value_kind:     global_buffer
      - .address_space:  global
        .offset:         8
        .size:           8
        .value_kind:     global_buffer
    .group_segment_fixed_size: 16384
    .kernarg_segment_align: 8
    .kernarg_segment_size: 16
    .language:       OpenCL C
    .language_version:
      - 2
      - 0
    .max_flat_workgroup_size: 1024
    .name:           _Z30ker_zmddft_fwd_256x256x256_cu2PKdPd
    .private_segment_fixed_size: 0
    .sgpr_count:     16
    .sgpr_spill_count: 0
    .symbol:         _Z30ker_zmddft_fwd_256x256x256_cu2PKdPd.kd
    .uniform_work_group_size: 1
    .uses_dynamic_stack: false
    .vgpr_count:     116
    .vgpr_spill_count: 0
    .wavefront_size: 32
amdhsa.target:   amdgcn-amd-amdhsa--gfx1250
amdhsa.version:
  - 1
  - 2
...

	.end_amdgpu_metadata
